;; amdgpu-corpus repo=ROCm/rocFFT kind=compiled arch=gfx1030 opt=O3
	.text
	.amdgcn_target "amdgcn-amd-amdhsa--gfx1030"
	.amdhsa_code_object_version 6
	.protected	fft_rtc_back_len1190_factors_17_2_5_7_wgs_255_tpt_85_halfLds_dp_op_CI_CI_unitstride_sbrr_C2R_dirReg ; -- Begin function fft_rtc_back_len1190_factors_17_2_5_7_wgs_255_tpt_85_halfLds_dp_op_CI_CI_unitstride_sbrr_C2R_dirReg
	.globl	fft_rtc_back_len1190_factors_17_2_5_7_wgs_255_tpt_85_halfLds_dp_op_CI_CI_unitstride_sbrr_C2R_dirReg
	.p2align	8
	.type	fft_rtc_back_len1190_factors_17_2_5_7_wgs_255_tpt_85_halfLds_dp_op_CI_CI_unitstride_sbrr_C2R_dirReg,@function
fft_rtc_back_len1190_factors_17_2_5_7_wgs_255_tpt_85_halfLds_dp_op_CI_CI_unitstride_sbrr_C2R_dirReg: ; @fft_rtc_back_len1190_factors_17_2_5_7_wgs_255_tpt_85_halfLds_dp_op_CI_CI_unitstride_sbrr_C2R_dirReg
; %bb.0:
	s_load_dwordx4 s[12:15], s[4:5], 0x0
	v_mul_u32_u24_e32 v1, 0x304, v0
	s_clause 0x1
	s_load_dwordx4 s[8:11], s[4:5], 0x58
	s_load_dwordx4 s[16:19], s[4:5], 0x18
	v_mov_b32_e32 v5, 0
	v_lshrrev_b32_e32 v3, 16, v1
	v_mov_b32_e32 v1, 0
	v_mov_b32_e32 v2, 0
	v_mad_u64_u32 v[3:4], null, s6, 3, v[3:4]
	v_mov_b32_e32 v4, v5
	v_mov_b32_e32 v73, v2
	;; [unrolled: 1-line block ×5, first 2 shown]
	s_waitcnt lgkmcnt(0)
	v_cmp_lt_u64_e64 s0, s[14:15], 2
	s_and_b32 vcc_lo, exec_lo, s0
	s_cbranch_vccnz .LBB0_8
; %bb.1:
	s_load_dwordx2 s[0:1], s[4:5], 0x10
	v_mov_b32_e32 v1, 0
	v_mov_b32_e32 v2, 0
	s_add_u32 s2, s18, 8
	v_mov_b32_e32 v8, v4
	s_addc_u32 s3, s19, 0
	v_mov_b32_e32 v7, v3
	v_mov_b32_e32 v73, v2
	s_add_u32 s6, s16, 8
	v_mov_b32_e32 v72, v1
	s_addc_u32 s7, s17, 0
	s_mov_b64 s[22:23], 1
	s_waitcnt lgkmcnt(0)
	s_add_u32 s20, s0, 8
	s_addc_u32 s21, s1, 0
.LBB0_2:                                ; =>This Inner Loop Header: Depth=1
	s_load_dwordx2 s[24:25], s[20:21], 0x0
                                        ; implicit-def: $vgpr76_vgpr77
	s_mov_b32 s0, exec_lo
	s_waitcnt lgkmcnt(0)
	v_or_b32_e32 v6, s25, v8
	v_cmpx_ne_u64_e32 0, v[5:6]
	s_xor_b32 s1, exec_lo, s0
	s_cbranch_execz .LBB0_4
; %bb.3:                                ;   in Loop: Header=BB0_2 Depth=1
	v_cvt_f32_u32_e32 v4, s24
	v_cvt_f32_u32_e32 v6, s25
	s_sub_u32 s0, 0, s24
	s_subb_u32 s26, 0, s25
	v_fmac_f32_e32 v4, 0x4f800000, v6
	v_rcp_f32_e32 v4, v4
	v_mul_f32_e32 v4, 0x5f7ffffc, v4
	v_mul_f32_e32 v6, 0x2f800000, v4
	v_trunc_f32_e32 v6, v6
	v_fmac_f32_e32 v4, 0xcf800000, v6
	v_cvt_u32_f32_e32 v6, v6
	v_cvt_u32_f32_e32 v4, v4
	v_mul_lo_u32 v9, s0, v6
	v_mul_hi_u32 v10, s0, v4
	v_mul_lo_u32 v11, s26, v4
	v_add_nc_u32_e32 v9, v10, v9
	v_mul_lo_u32 v10, s0, v4
	v_add_nc_u32_e32 v9, v9, v11
	v_mul_hi_u32 v11, v4, v10
	v_mul_lo_u32 v12, v4, v9
	v_mul_hi_u32 v13, v4, v9
	v_mul_hi_u32 v14, v6, v10
	v_mul_lo_u32 v10, v6, v10
	v_mul_hi_u32 v15, v6, v9
	v_mul_lo_u32 v9, v6, v9
	v_add_co_u32 v11, vcc_lo, v11, v12
	v_add_co_ci_u32_e32 v12, vcc_lo, 0, v13, vcc_lo
	v_add_co_u32 v10, vcc_lo, v11, v10
	v_add_co_ci_u32_e32 v10, vcc_lo, v12, v14, vcc_lo
	v_add_co_ci_u32_e32 v11, vcc_lo, 0, v15, vcc_lo
	v_add_co_u32 v9, vcc_lo, v10, v9
	v_add_co_ci_u32_e32 v10, vcc_lo, 0, v11, vcc_lo
	v_add_co_u32 v4, vcc_lo, v4, v9
	v_add_co_ci_u32_e32 v6, vcc_lo, v6, v10, vcc_lo
	v_mul_hi_u32 v9, s0, v4
	v_mul_lo_u32 v11, s26, v4
	v_mul_lo_u32 v10, s0, v6
	v_add_nc_u32_e32 v9, v9, v10
	v_mul_lo_u32 v10, s0, v4
	v_add_nc_u32_e32 v9, v9, v11
	v_mul_hi_u32 v11, v4, v10
	v_mul_lo_u32 v12, v4, v9
	v_mul_hi_u32 v13, v4, v9
	v_mul_hi_u32 v14, v6, v10
	v_mul_lo_u32 v10, v6, v10
	v_mul_hi_u32 v15, v6, v9
	v_mul_lo_u32 v9, v6, v9
	v_add_co_u32 v11, vcc_lo, v11, v12
	v_add_co_ci_u32_e32 v12, vcc_lo, 0, v13, vcc_lo
	v_add_co_u32 v10, vcc_lo, v11, v10
	v_add_co_ci_u32_e32 v10, vcc_lo, v12, v14, vcc_lo
	v_add_co_ci_u32_e32 v11, vcc_lo, 0, v15, vcc_lo
	v_add_co_u32 v9, vcc_lo, v10, v9
	v_add_co_ci_u32_e32 v10, vcc_lo, 0, v11, vcc_lo
	v_add_co_u32 v4, vcc_lo, v4, v9
	v_add_co_ci_u32_e32 v6, vcc_lo, v6, v10, vcc_lo
	v_mul_hi_u32 v15, v7, v4
	v_mad_u64_u32 v[11:12], null, v8, v4, 0
	v_mad_u64_u32 v[9:10], null, v7, v6, 0
	;; [unrolled: 1-line block ×3, first 2 shown]
	v_add_co_u32 v4, vcc_lo, v15, v9
	v_add_co_ci_u32_e32 v6, vcc_lo, 0, v10, vcc_lo
	v_add_co_u32 v4, vcc_lo, v4, v11
	v_add_co_ci_u32_e32 v4, vcc_lo, v6, v12, vcc_lo
	v_add_co_ci_u32_e32 v6, vcc_lo, 0, v14, vcc_lo
	v_add_co_u32 v4, vcc_lo, v4, v13
	v_add_co_ci_u32_e32 v6, vcc_lo, 0, v6, vcc_lo
	v_mul_lo_u32 v11, s25, v4
	v_mad_u64_u32 v[9:10], null, s24, v4, 0
	v_mul_lo_u32 v12, s24, v6
	v_sub_co_u32 v9, vcc_lo, v7, v9
	v_add3_u32 v10, v10, v12, v11
	v_sub_nc_u32_e32 v11, v8, v10
	v_subrev_co_ci_u32_e64 v11, s0, s25, v11, vcc_lo
	v_add_co_u32 v12, s0, v4, 2
	v_add_co_ci_u32_e64 v13, s0, 0, v6, s0
	v_sub_co_u32 v14, s0, v9, s24
	v_sub_co_ci_u32_e32 v10, vcc_lo, v8, v10, vcc_lo
	v_subrev_co_ci_u32_e64 v11, s0, 0, v11, s0
	v_cmp_le_u32_e32 vcc_lo, s24, v14
	v_cmp_eq_u32_e64 s0, s25, v10
	v_cndmask_b32_e64 v14, 0, -1, vcc_lo
	v_cmp_le_u32_e32 vcc_lo, s25, v11
	v_cndmask_b32_e64 v15, 0, -1, vcc_lo
	v_cmp_le_u32_e32 vcc_lo, s24, v9
	;; [unrolled: 2-line block ×3, first 2 shown]
	v_cndmask_b32_e64 v16, 0, -1, vcc_lo
	v_cmp_eq_u32_e32 vcc_lo, s25, v11
	v_cndmask_b32_e64 v9, v16, v9, s0
	v_cndmask_b32_e32 v11, v15, v14, vcc_lo
	v_add_co_u32 v14, vcc_lo, v4, 1
	v_add_co_ci_u32_e32 v15, vcc_lo, 0, v6, vcc_lo
	v_cmp_ne_u32_e32 vcc_lo, 0, v11
	v_cndmask_b32_e32 v10, v15, v13, vcc_lo
	v_cndmask_b32_e32 v11, v14, v12, vcc_lo
	v_cmp_ne_u32_e32 vcc_lo, 0, v9
	v_cndmask_b32_e32 v77, v6, v10, vcc_lo
	v_cndmask_b32_e32 v76, v4, v11, vcc_lo
.LBB0_4:                                ;   in Loop: Header=BB0_2 Depth=1
	s_andn2_saveexec_b32 s0, s1
	s_cbranch_execz .LBB0_6
; %bb.5:                                ;   in Loop: Header=BB0_2 Depth=1
	v_cvt_f32_u32_e32 v4, s24
	s_sub_i32 s1, 0, s24
	v_mov_b32_e32 v77, v5
	v_rcp_iflag_f32_e32 v4, v4
	v_mul_f32_e32 v4, 0x4f7ffffe, v4
	v_cvt_u32_f32_e32 v4, v4
	v_mul_lo_u32 v6, s1, v4
	v_mul_hi_u32 v6, v4, v6
	v_add_nc_u32_e32 v4, v4, v6
	v_mul_hi_u32 v4, v7, v4
	v_mul_lo_u32 v6, v4, s24
	v_add_nc_u32_e32 v9, 1, v4
	v_sub_nc_u32_e32 v6, v7, v6
	v_subrev_nc_u32_e32 v10, s24, v6
	v_cmp_le_u32_e32 vcc_lo, s24, v6
	v_cndmask_b32_e32 v6, v6, v10, vcc_lo
	v_cndmask_b32_e32 v4, v4, v9, vcc_lo
	v_cmp_le_u32_e32 vcc_lo, s24, v6
	v_add_nc_u32_e32 v9, 1, v4
	v_cndmask_b32_e32 v76, v4, v9, vcc_lo
.LBB0_6:                                ;   in Loop: Header=BB0_2 Depth=1
	s_or_b32 exec_lo, exec_lo, s0
	v_mul_lo_u32 v4, v77, s24
	v_mul_lo_u32 v6, v76, s25
	s_load_dwordx2 s[0:1], s[6:7], 0x0
	v_mad_u64_u32 v[9:10], null, v76, s24, 0
	s_load_dwordx2 s[24:25], s[2:3], 0x0
	s_add_u32 s22, s22, 1
	s_addc_u32 s23, s23, 0
	s_add_u32 s2, s2, 8
	s_addc_u32 s3, s3, 0
	s_add_u32 s6, s6, 8
	v_add3_u32 v4, v10, v6, v4
	v_sub_co_u32 v6, vcc_lo, v7, v9
	s_addc_u32 s7, s7, 0
	s_add_u32 s20, s20, 8
	v_sub_co_ci_u32_e32 v4, vcc_lo, v8, v4, vcc_lo
	s_addc_u32 s21, s21, 0
	s_waitcnt lgkmcnt(0)
	v_mul_lo_u32 v7, s0, v4
	v_mul_lo_u32 v8, s1, v6
	v_mad_u64_u32 v[1:2], null, s0, v6, v[1:2]
	v_mul_lo_u32 v4, s24, v4
	v_mul_lo_u32 v9, s25, v6
	v_mad_u64_u32 v[72:73], null, s24, v6, v[72:73]
	v_cmp_ge_u64_e64 s0, s[22:23], s[14:15]
	v_add3_u32 v2, v8, v2, v7
	v_add3_u32 v73, v9, v73, v4
	s_and_b32 vcc_lo, exec_lo, s0
	s_cbranch_vccnz .LBB0_8
; %bb.7:                                ;   in Loop: Header=BB0_2 Depth=1
	v_mov_b32_e32 v7, v76
	v_mov_b32_e32 v8, v77
	s_branch .LBB0_2
.LBB0_8:
	s_load_dwordx2 s[0:1], s[4:5], 0x28
	v_mul_hi_u32 v4, 0xaaaaaaab, v3
	s_lshl_b64 s[4:5], s[14:15], 3
                                        ; implicit-def: $vgpr74
	s_add_u32 s2, s18, s4
	s_addc_u32 s3, s19, s5
	v_lshrrev_b32_e32 v4, 1, v4
	v_lshl_add_u32 v5, v4, 1, v4
	v_mul_hi_u32 v4, 0x3030304, v0
	v_sub_nc_u32_e32 v3, v3, v5
	s_waitcnt lgkmcnt(0)
	v_cmp_gt_u64_e32 vcc_lo, s[0:1], v[76:77]
	v_cmp_le_u64_e64 s0, s[0:1], v[76:77]
	s_and_saveexec_b32 s1, s0
	s_xor_b32 s0, exec_lo, s1
; %bb.9:
	v_mul_u32_u24_e32 v1, 0x55, v4
                                        ; implicit-def: $vgpr4
	v_sub_nc_u32_e32 v74, v0, v1
                                        ; implicit-def: $vgpr0
                                        ; implicit-def: $vgpr1_vgpr2
; %bb.10:
	s_or_saveexec_b32 s1, s0
	s_load_dwordx2 s[2:3], s[2:3], 0x0
	v_mul_u32_u24_e32 v10, 0x4a7, v3
	v_lshlrev_b32_e32 v176, 4, v10
	s_xor_b32 exec_lo, exec_lo, s1
	s_cbranch_execz .LBB0_14
; %bb.11:
	s_add_u32 s4, s16, s4
	s_addc_u32 s5, s17, s5
	v_lshlrev_b64 v[1:2], 4, v[1:2]
	s_load_dwordx2 s[4:5], s[4:5], 0x0
	s_waitcnt lgkmcnt(0)
	v_mul_lo_u32 v3, s5, v76
	v_mul_lo_u32 v7, s4, v77
	v_mad_u64_u32 v[5:6], null, s4, v76, 0
	s_mov_b32 s4, exec_lo
	v_add3_u32 v6, v6, v7, v3
	v_mul_u32_u24_e32 v7, 0x55, v4
	v_lshlrev_b64 v[3:4], 4, v[5:6]
	v_sub_nc_u32_e32 v74, v0, v7
	v_lshlrev_b32_e32 v9, 4, v74
	v_add_co_u32 v0, s0, s8, v3
	v_add_co_ci_u32_e64 v3, s0, s9, v4, s0
	v_add_co_u32 v0, s0, v0, v1
	v_add_co_ci_u32_e64 v1, s0, v3, v2, s0
	v_add3_u32 v2, 0, v176, v9
	v_add_co_u32 v7, s0, v0, v9
	v_add_co_ci_u32_e64 v8, s0, 0, v1, s0
	s_clause 0x1
	global_load_dwordx4 v[3:6], v[7:8], off
	global_load_dwordx4 v[11:14], v[7:8], off offset:1360
	v_add_co_u32 v19, s0, 0x800, v7
	v_add_co_ci_u32_e64 v20, s0, 0, v8, s0
	v_add_co_u32 v23, s0, 0x1000, v7
	v_add_co_ci_u32_e64 v24, s0, 0, v8, s0
	;; [unrolled: 2-line block ×8, first 2 shown]
	s_clause 0xb
	global_load_dwordx4 v[15:18], v[19:20], off offset:672
	global_load_dwordx4 v[19:22], v[19:20], off offset:2032
	;; [unrolled: 1-line block ×12, first 2 shown]
	s_waitcnt vmcnt(13)
	ds_write_b128 v2, v[3:6]
	s_waitcnt vmcnt(12)
	ds_write_b128 v2, v[11:14] offset:1360
	s_waitcnt vmcnt(11)
	ds_write_b128 v2, v[15:18] offset:2720
	s_waitcnt vmcnt(10)
	ds_write_b128 v2, v[19:22] offset:4080
	s_waitcnt vmcnt(9)
	ds_write_b128 v2, v[23:26] offset:5440
	s_waitcnt vmcnt(8)
	ds_write_b128 v2, v[27:30] offset:6800
	s_waitcnt vmcnt(7)
	ds_write_b128 v2, v[31:34] offset:8160
	s_waitcnt vmcnt(6)
	ds_write_b128 v2, v[35:38] offset:9520
	s_waitcnt vmcnt(5)
	ds_write_b128 v2, v[39:42] offset:10880
	s_waitcnt vmcnt(4)
	ds_write_b128 v2, v[43:46] offset:12240
	s_waitcnt vmcnt(3)
	ds_write_b128 v2, v[47:50] offset:13600
	s_waitcnt vmcnt(2)
	ds_write_b128 v2, v[51:54] offset:14960
	s_waitcnt vmcnt(1)
	ds_write_b128 v2, v[55:58] offset:16320
	s_waitcnt vmcnt(0)
	ds_write_b128 v2, v[59:62] offset:17680
	v_cmpx_eq_u32_e32 0x54, v74
	s_cbranch_execz .LBB0_13
; %bb.12:
	v_add_co_u32 v0, s0, 0x4800, v0
	v_add_co_ci_u32_e64 v1, s0, 0, v1, s0
	v_mov_b32_e32 v74, 0x54
	global_load_dwordx4 v[3:6], v[0:1], off offset:608
	s_waitcnt vmcnt(0)
	ds_write_b128 v2, v[3:6] offset:17696
.LBB0_13:
	s_or_b32 exec_lo, exec_lo, s4
.LBB0_14:
	s_or_b32 exec_lo, exec_lo, s1
	v_lshl_add_u32 v174, v10, 4, 0
	v_lshlrev_b32_e32 v0, 4, v74
	s_waitcnt lgkmcnt(0)
	s_barrier
	buffer_gl0_inv
	s_add_u32 s1, s12, 0x4950
	v_add_nc_u32_e32 v175, v174, v0
	v_sub_nc_u32_e32 v11, v174, v0
	s_addc_u32 s4, s13, 0
	s_mov_b32 s5, exec_lo
	ds_read_b64 v[6:7], v175
	ds_read_b64 v[8:9], v11 offset:19040
                                        ; implicit-def: $vgpr4_vgpr5
	s_waitcnt lgkmcnt(0)
	v_add_f64 v[0:1], v[6:7], v[8:9]
	v_add_f64 v[2:3], v[6:7], -v[8:9]
	v_cmpx_ne_u32_e32 0, v74
	s_xor_b32 s5, exec_lo, s5
	s_cbranch_execz .LBB0_16
; %bb.15:
	v_mov_b32_e32 v75, 0
	v_add_f64 v[14:15], v[6:7], v[8:9]
	v_add_f64 v[16:17], v[6:7], -v[8:9]
	v_lshlrev_b64 v[0:1], 4, v[74:75]
	v_add_co_u32 v0, s0, s1, v0
	v_add_co_ci_u32_e64 v1, s0, s4, v1, s0
	global_load_dwordx4 v[2:5], v[0:1], off
	ds_read_b64 v[0:1], v11 offset:19048
	ds_read_b64 v[12:13], v175 offset:8
	s_waitcnt lgkmcnt(0)
	v_add_f64 v[6:7], v[0:1], v[12:13]
	v_add_f64 v[0:1], v[12:13], -v[0:1]
	s_waitcnt vmcnt(0)
	v_fma_f64 v[8:9], v[16:17], v[4:5], v[14:15]
	v_fma_f64 v[12:13], -v[16:17], v[4:5], v[14:15]
	v_fma_f64 v[14:15], v[6:7], v[4:5], -v[0:1]
	v_fma_f64 v[4:5], v[6:7], v[4:5], v[0:1]
	v_fma_f64 v[0:1], -v[6:7], v[2:3], v[8:9]
	v_fma_f64 v[6:7], v[6:7], v[2:3], v[12:13]
	v_fma_f64 v[8:9], v[16:17], v[2:3], v[14:15]
	;; [unrolled: 1-line block ×3, first 2 shown]
	v_mov_b32_e32 v4, v74
	v_mov_b32_e32 v5, v75
	ds_write_b128 v11, v[6:9] offset:19040
.LBB0_16:
	s_andn2_saveexec_b32 s0, s5
	s_cbranch_execz .LBB0_18
; %bb.17:
	ds_read_b128 v[4:7], v174 offset:9520
	s_waitcnt lgkmcnt(0)
	v_add_f64 v[12:13], v[4:5], v[4:5]
	v_mul_f64 v[14:15], v[6:7], -2.0
	v_mov_b32_e32 v4, 0
	v_mov_b32_e32 v5, 0
	ds_write_b128 v174, v[12:15] offset:9520
.LBB0_18:
	s_or_b32 exec_lo, exec_lo, s0
	v_lshlrev_b64 v[4:5], 4, v[4:5]
	s_mov_b32 s24, 0x7c9e640b
	s_mov_b32 s25, 0xbfeca52d
	;; [unrolled: 1-line block ×5, first 2 shown]
	v_add_co_u32 v28, s0, s1, v4
	v_add_co_ci_u32_e64 v29, s0, s4, v5, s0
	s_mov_b32 s4, 0x2b2883cd
	v_add_co_u32 v8, s0, 0x800, v28
	global_load_dwordx4 v[4:7], v[28:29], off offset:1360
	v_add_co_ci_u32_e64 v9, s0, 0, v29, s0
	s_mov_b32 s5, 0x3fdc86fa
	s_mov_b32 s17, 0xbfe9895b
	s_clause 0x1
	global_load_dwordx4 v[12:15], v[8:9], off offset:672
	global_load_dwordx4 v[16:19], v[8:9], off offset:2032
	v_add_co_u32 v8, s0, 0x1000, v28
	v_add_co_ci_u32_e64 v9, s0, 0, v29, s0
	ds_write_b128 v175, v[0:3]
	ds_read_b128 v[0:3], v175 offset:1360
	ds_read_b128 v[20:23], v11 offset:17680
	v_add_co_u32 v28, s0, 0x1800, v28
	global_load_dwordx4 v[24:27], v[8:9], off offset:1344
	v_add_co_ci_u32_e64 v29, s0, 0, v29, s0
	s_mov_b32 s6, 0x7faef3
	s_mov_b32 s7, 0xbfef7484
	;; [unrolled: 1-line block ×14, first 2 shown]
	s_waitcnt lgkmcnt(0)
	v_add_f64 v[8:9], v[0:1], v[20:21]
	v_add_f64 v[30:31], v[22:23], v[2:3]
	v_add_f64 v[20:21], v[0:1], -v[20:21]
	v_add_f64 v[0:1], v[2:3], -v[22:23]
	s_mov_b32 s23, 0x3fedd6d0
	s_mov_b32 s41, 0xbfd71e95
	;; [unrolled: 1-line block ×10, first 2 shown]
	s_mov_b32 s33, exec_lo
	s_waitcnt vmcnt(3)
	v_fma_f64 v[2:3], v[20:21], v[6:7], v[8:9]
	v_fma_f64 v[22:23], v[30:31], v[6:7], v[0:1]
	v_fma_f64 v[8:9], -v[20:21], v[6:7], v[8:9]
	v_fma_f64 v[32:33], v[30:31], v[6:7], -v[0:1]
	v_fma_f64 v[0:1], -v[30:31], v[4:5], v[2:3]
	v_fma_f64 v[2:3], v[20:21], v[4:5], v[22:23]
	v_fma_f64 v[6:7], v[30:31], v[4:5], v[8:9]
	;; [unrolled: 1-line block ×3, first 2 shown]
	ds_write_b128 v175, v[0:3] offset:1360
	ds_write_b128 v11, v[6:9] offset:17680
	ds_read_b128 v[0:3], v175 offset:2720
	ds_read_b128 v[4:7], v11 offset:16320
	global_load_dwordx4 v[20:23], v[28:29], off offset:656
	s_waitcnt lgkmcnt(0)
	v_add_f64 v[8:9], v[0:1], v[4:5]
	v_add_f64 v[30:31], v[6:7], v[2:3]
	v_add_f64 v[32:33], v[0:1], -v[4:5]
	v_add_f64 v[0:1], v[2:3], -v[6:7]
	s_waitcnt vmcnt(3)
	v_fma_f64 v[2:3], v[32:33], v[14:15], v[8:9]
	v_fma_f64 v[4:5], v[30:31], v[14:15], v[0:1]
	v_fma_f64 v[6:7], -v[32:33], v[14:15], v[8:9]
	v_fma_f64 v[8:9], v[30:31], v[14:15], -v[0:1]
	v_fma_f64 v[0:1], -v[30:31], v[12:13], v[2:3]
	v_fma_f64 v[2:3], v[32:33], v[12:13], v[4:5]
	v_fma_f64 v[4:5], v[30:31], v[12:13], v[6:7]
	;; [unrolled: 1-line block ×3, first 2 shown]
	ds_write_b128 v175, v[0:3] offset:2720
	ds_write_b128 v11, v[4:7] offset:16320
	ds_read_b128 v[0:3], v175 offset:4080
	ds_read_b128 v[4:7], v11 offset:14960
	global_load_dwordx4 v[12:15], v[28:29], off offset:2016
	s_waitcnt lgkmcnt(0)
	v_add_f64 v[8:9], v[0:1], v[4:5]
	v_add_f64 v[28:29], v[6:7], v[2:3]
	v_add_f64 v[30:31], v[0:1], -v[4:5]
	v_add_f64 v[0:1], v[2:3], -v[6:7]
	s_waitcnt vmcnt(3)
	v_fma_f64 v[2:3], v[30:31], v[18:19], v[8:9]
	v_fma_f64 v[4:5], v[28:29], v[18:19], v[0:1]
	v_fma_f64 v[6:7], -v[30:31], v[18:19], v[8:9]
	v_fma_f64 v[8:9], v[28:29], v[18:19], -v[0:1]
	v_fma_f64 v[0:1], -v[28:29], v[16:17], v[2:3]
	v_fma_f64 v[2:3], v[30:31], v[16:17], v[4:5]
	v_fma_f64 v[4:5], v[28:29], v[16:17], v[6:7]
	v_fma_f64 v[6:7], v[30:31], v[16:17], v[8:9]
	ds_write_b128 v175, v[0:3] offset:4080
	ds_write_b128 v11, v[4:7] offset:14960
	ds_read_b128 v[0:3], v175 offset:5440
	ds_read_b128 v[4:7], v11 offset:13600
	s_waitcnt lgkmcnt(0)
	v_add_f64 v[8:9], v[0:1], v[4:5]
	v_add_f64 v[16:17], v[6:7], v[2:3]
	v_add_f64 v[18:19], v[0:1], -v[4:5]
	v_add_f64 v[0:1], v[2:3], -v[6:7]
	s_waitcnt vmcnt(2)
	v_fma_f64 v[2:3], v[18:19], v[26:27], v[8:9]
	v_fma_f64 v[4:5], v[16:17], v[26:27], v[0:1]
	v_fma_f64 v[6:7], -v[18:19], v[26:27], v[8:9]
	v_fma_f64 v[8:9], v[16:17], v[26:27], -v[0:1]
	v_fma_f64 v[0:1], -v[16:17], v[24:25], v[2:3]
	v_fma_f64 v[2:3], v[18:19], v[24:25], v[4:5]
	v_fma_f64 v[4:5], v[16:17], v[24:25], v[6:7]
	v_fma_f64 v[6:7], v[18:19], v[24:25], v[8:9]
	ds_write_b128 v175, v[0:3] offset:5440
	ds_write_b128 v11, v[4:7] offset:13600
	ds_read_b128 v[0:3], v175 offset:6800
	ds_read_b128 v[4:7], v11 offset:12240
	;; [unrolled: 18-line block ×3, first 2 shown]
	s_waitcnt lgkmcnt(0)
	v_add_f64 v[8:9], v[0:1], v[4:5]
	v_add_f64 v[16:17], v[6:7], v[2:3]
	v_add_f64 v[18:19], v[0:1], -v[4:5]
	v_add_f64 v[0:1], v[2:3], -v[6:7]
	s_waitcnt vmcnt(0)
	v_fma_f64 v[2:3], v[18:19], v[14:15], v[8:9]
	v_fma_f64 v[4:5], v[16:17], v[14:15], v[0:1]
	v_fma_f64 v[6:7], -v[18:19], v[14:15], v[8:9]
	v_fma_f64 v[8:9], v[16:17], v[14:15], -v[0:1]
	v_fma_f64 v[0:1], -v[16:17], v[12:13], v[2:3]
	v_fma_f64 v[2:3], v[18:19], v[12:13], v[4:5]
	v_fma_f64 v[4:5], v[16:17], v[12:13], v[6:7]
	;; [unrolled: 1-line block ×3, first 2 shown]
	v_lshl_add_u32 v8, v74, 4, 0
	ds_write_b128 v175, v[0:3] offset:8160
	ds_write_b128 v11, v[4:7] offset:10880
	v_lshl_add_u32 v75, v10, 4, v8
	s_waitcnt lgkmcnt(0)
	s_barrier
	buffer_gl0_inv
	s_barrier
	buffer_gl0_inv
	ds_read_b128 v[4:7], v75 offset:17920
	ds_read_b128 v[68:71], v75 offset:1120
	;; [unrolled: 1-line block ×3, first 2 shown]
	ds_read_b128 v[20:23], v175
	ds_read_b128 v[64:67], v75 offset:2240
	ds_read_b128 v[56:59], v75 offset:3360
	;; [unrolled: 1-line block ×9, first 2 shown]
	s_waitcnt lgkmcnt(11)
	v_add_f64 v[126:127], v[70:71], -v[6:7]
	v_add_f64 v[102:103], v[70:71], v[6:7]
	v_add_f64 v[110:111], v[68:69], v[4:5]
	v_add_f64 v[138:139], v[68:69], -v[4:5]
	s_waitcnt lgkmcnt(8)
	v_add_f64 v[96:97], v[66:67], -v[10:11]
	v_add_f64 v[78:79], v[66:67], v[10:11]
	v_add_f64 v[88:89], v[64:65], v[8:9]
	v_add_f64 v[130:131], v[64:65], -v[8:9]
	;; [unrolled: 5-line block ×5, first 2 shown]
	s_waitcnt lgkmcnt(0)
	v_add_f64 v[118:119], v[54:55], -v[30:31]
	v_add_f64 v[86:87], v[54:55], v[30:31]
	v_mul_f64 v[148:149], v[126:127], s[24:25]
	v_mul_f64 v[160:161], v[102:103], s[4:5]
	v_add_f64 v[112:113], v[52:53], v[28:29]
	v_add_f64 v[144:145], v[52:53], -v[28:29]
	v_mul_f64 v[156:157], v[96:97], s[16:17]
	v_mul_f64 v[162:163], v[78:79], s[8:9]
	;; [unrolled: 1-line block ×10, first 2 shown]
	v_fma_f64 v[0:1], v[110:111], s[4:5], -v[148:149]
	v_fma_f64 v[2:3], v[138:139], s[24:25], v[160:161]
	v_fma_f64 v[32:33], v[88:89], s[8:9], -v[156:157]
	v_fma_f64 v[34:35], v[130:131], s[16:17], v[162:163]
	;; [unrolled: 2-line block ×6, first 2 shown]
	v_add_f64 v[0:1], v[20:21], v[0:1]
	v_add_f64 v[2:3], v[22:23], v[2:3]
	;; [unrolled: 1-line block ×4, first 2 shown]
	ds_read_b128 v[48:51], v75 offset:7840
	ds_read_b128 v[32:35], v75 offset:11200
	s_waitcnt lgkmcnt(0)
	v_add_f64 v[122:123], v[50:51], -v[34:35]
	v_add_f64 v[0:1], v[36:37], v[0:1]
	v_add_f64 v[2:3], v[38:39], v[2:3]
	;; [unrolled: 1-line block ×3, first 2 shown]
	ds_read_b128 v[40:43], v75 offset:8960
	ds_read_b128 v[36:39], v75 offset:10080
	v_add_f64 v[132:133], v[48:49], -v[32:33]
	s_waitcnt lgkmcnt(0)
	s_barrier
	buffer_gl0_inv
	v_mul_f64 v[158:159], v[122:123], s[38:39]
	v_add_f64 v[0:1], v[92:93], v[0:1]
	v_add_f64 v[2:3], v[100:101], v[2:3]
	;; [unrolled: 1-line block ×3, first 2 shown]
	v_add_f64 v[120:121], v[42:43], -v[38:39]
	v_add_f64 v[92:93], v[42:43], v[38:39]
	v_mul_f64 v[172:173], v[90:91], s[36:37]
	v_add_f64 v[134:135], v[40:41], -v[36:37]
	v_add_f64 v[0:1], v[106:107], v[0:1]
	v_add_f64 v[2:3], v[124:125], v[2:3]
	;; [unrolled: 1-line block ×3, first 2 shown]
	v_mul_f64 v[124:125], v[120:121], s[34:35]
	v_mul_f64 v[128:129], v[92:93], s[30:31]
	v_fma_f64 v[181:182], v[100:101], s[36:37], -v[158:159]
	v_fma_f64 v[183:184], v[132:133], s[38:39], v[172:173]
	v_add_f64 v[0:1], v[177:178], v[0:1]
	v_add_f64 v[2:3], v[179:180], v[2:3]
	v_fma_f64 v[177:178], v[106:107], s[30:31], -v[124:125]
	v_fma_f64 v[179:180], v[134:135], s[34:35], v[128:129]
	v_add_f64 v[0:1], v[181:182], v[0:1]
	v_add_f64 v[2:3], v[183:184], v[2:3]
	;; [unrolled: 1-line block ×4, first 2 shown]
	v_cmpx_gt_u32_e32 0x46, v74
	s_cbranch_execz .LBB0_20
; %bb.19:
	v_add_f64 v[70:71], v[22:23], v[70:71]
	v_add_f64 v[68:69], v[20:21], v[68:69]
	v_mul_f64 v[177:178], v[138:139], s[34:35]
	s_mov_b32 s1, 0x3feca52d
	s_mov_b32 s0, s24
	v_mul_f64 v[181:182], v[136:137], s[38:39]
	v_mul_f64 v[183:184], v[108:109], s[38:39]
	s_mov_b32 s43, 0x3fe9895b
	s_mov_b32 s42, s16
	;; [unrolled: 1-line block ×6, first 2 shown]
	v_mul_f64 v[191:192], v[136:137], s[34:35]
	v_mul_f64 v[193:194], v[96:97], s[44:45]
	s_mov_b32 s53, 0x3fefdd0d
	s_mov_b32 s52, s38
	v_mul_f64 v[203:204], v[130:131], s[26:27]
	s_mov_b32 s49, 0xbfe58eea
	s_mov_b32 s48, s28
	;; [unrolled: 1-line block ×4, first 2 shown]
	v_add_f64 v[66:67], v[70:71], v[66:67]
	v_add_f64 v[64:65], v[68:69], v[64:65]
	v_mul_f64 v[68:69], v[126:127], s[34:35]
	v_mul_f64 v[70:71], v[130:131], s[0:1]
	v_fma_f64 v[179:180], v[102:103], s[30:31], v[177:178]
	v_fma_f64 v[177:178], v[102:103], s[30:31], -v[177:178]
	v_fma_f64 v[205:206], v[78:79], s[20:21], v[203:204]
	v_add_f64 v[58:59], v[66:67], v[58:59]
	v_add_f64 v[56:57], v[64:65], v[56:57]
	v_mul_f64 v[64:65], v[96:97], s[0:1]
	v_fma_f64 v[66:67], v[110:111], s[30:31], -v[68:69]
	v_fma_f64 v[68:69], v[110:111], s[30:31], v[68:69]
	v_fma_f64 v[185:186], v[78:79], s[4:5], v[70:71]
	v_add_f64 v[179:180], v[22:23], v[179:180]
	v_add_f64 v[58:59], v[58:59], v[62:63]
	;; [unrolled: 1-line block ×3, first 2 shown]
	v_fma_f64 v[60:61], v[88:89], s[4:5], -v[64:65]
	v_add_f64 v[62:63], v[20:21], v[66:67]
	v_fma_f64 v[66:67], v[78:79], s[4:5], -v[70:71]
	v_add_f64 v[70:71], v[22:23], v[177:178]
	v_fma_f64 v[64:65], v[88:89], s[4:5], v[64:65]
	v_add_f64 v[68:69], v[20:21], v[68:69]
	v_mul_f64 v[177:178], v[142:143], s[42:43]
	v_add_f64 v[179:180], v[185:186], v[179:180]
	v_fma_f64 v[185:186], v[84:85], s[36:37], v[181:182]
	v_fma_f64 v[181:182], v[84:85], s[36:37], -v[181:182]
	v_add_f64 v[46:47], v[58:59], v[46:47]
	v_add_f64 v[44:45], v[56:57], v[44:45]
	v_mul_f64 v[56:57], v[132:133], s[28:29]
	v_add_f64 v[60:61], v[60:61], v[62:63]
	v_fma_f64 v[62:63], v[104:105], s[36:37], -v[183:184]
	v_add_f64 v[66:67], v[66:67], v[70:71]
	v_mul_f64 v[70:71], v[116:117], s[42:43]
	v_fma_f64 v[183:184], v[104:105], s[36:37], v[183:184]
	v_add_f64 v[64:65], v[64:65], v[68:69]
	v_mul_f64 v[68:69], v[140:141], s[40:41]
	v_add_f64 v[179:180], v[185:186], v[179:180]
	v_fma_f64 v[185:186], v[82:83], s[8:9], v[177:178]
	v_fma_f64 v[177:178], v[82:83], s[8:9], -v[177:178]
	v_add_f64 v[46:47], v[46:47], v[54:55]
	v_add_f64 v[44:45], v[44:45], v[52:53]
	v_mul_f64 v[52:53], v[120:121], s[46:47]
	v_add_f64 v[62:63], v[62:63], v[60:61]
	v_add_f64 v[66:67], v[181:182], v[66:67]
	v_fma_f64 v[187:188], v[94:95], s[8:9], -v[70:71]
	v_fma_f64 v[70:71], v[94:95], s[8:9], v[70:71]
	v_add_f64 v[64:65], v[183:184], v[64:65]
	v_mul_f64 v[181:182], v[114:115], s[40:41]
	v_mul_f64 v[60:61], v[136:137], s[14:15]
	s_mov_b32 s15, 0xbfc7851a
	v_add_f64 v[179:180], v[185:186], v[179:180]
	v_mul_f64 v[183:184], v[144:145], s[14:15]
	v_mul_f64 v[185:186], v[118:119], s[14:15]
	;; [unrolled: 1-line block ×3, first 2 shown]
	v_add_f64 v[66:67], v[177:178], v[66:67]
	v_add_f64 v[62:63], v[187:188], v[62:63]
	v_fma_f64 v[177:178], v[80:81], s[22:23], v[68:69]
	v_add_f64 v[64:65], v[70:71], v[64:65]
	v_fma_f64 v[70:71], v[98:99], s[22:23], -v[181:182]
	v_fma_f64 v[68:69], v[80:81], s[22:23], -v[68:69]
	v_fma_f64 v[181:182], v[98:99], s[22:23], v[181:182]
	v_mul_f64 v[187:188], v[138:139], s[14:15]
	v_fma_f64 v[58:59], v[86:87], s[6:7], v[183:184]
	v_fma_f64 v[183:184], v[86:87], s[6:7], -v[183:184]
	v_add_f64 v[60:61], v[170:171], -v[60:61]
	v_mul_f64 v[170:171], v[88:89], s[8:9]
	v_add_f64 v[177:178], v[177:178], v[179:180]
	v_fma_f64 v[179:180], v[112:113], s[6:7], -v[185:186]
	v_add_f64 v[62:63], v[70:71], v[62:63]
	v_mul_f64 v[70:71], v[122:123], s[28:29]
	v_add_f64 v[66:67], v[68:69], v[66:67]
	v_fma_f64 v[68:69], v[112:113], s[6:7], v[185:186]
	v_add_f64 v[64:65], v[181:182], v[64:65]
	v_mul_f64 v[181:182], v[134:135], s[46:47]
	v_mul_f64 v[185:186], v[130:131], s[44:45]
	v_add_f64 v[156:157], v[170:171], v[156:157]
	v_mul_f64 v[170:171], v[114:115], s[24:25]
	v_add_f64 v[54:55], v[58:59], v[177:178]
	v_fma_f64 v[58:59], v[90:91], s[18:19], v[56:57]
	v_add_f64 v[62:63], v[179:180], v[62:63]
	v_fma_f64 v[177:178], v[100:101], s[18:19], -v[70:71]
	v_fma_f64 v[56:57], v[90:91], s[18:19], -v[56:57]
	v_add_f64 v[179:180], v[183:184], v[66:67]
	v_fma_f64 v[70:71], v[100:101], s[18:19], v[70:71]
	v_fma_f64 v[183:184], v[102:103], s[6:7], v[187:188]
	v_add_f64 v[64:65], v[68:69], v[64:65]
	v_add_f64 v[66:67], v[46:47], v[50:51]
	;; [unrolled: 1-line block ×3, first 2 shown]
	v_fma_f64 v[46:47], v[92:93], s[20:21], v[181:182]
	v_fma_f64 v[50:51], v[106:107], s[20:21], -v[52:53]
	v_fma_f64 v[52:53], v[106:107], s[20:21], v[52:53]
	v_fma_f64 v[187:188], v[102:103], s[6:7], -v[187:188]
	v_add_f64 v[44:45], v[58:59], v[54:55]
	v_add_f64 v[48:49], v[177:178], v[62:63]
	v_mul_f64 v[177:178], v[108:109], s[34:35]
	v_add_f64 v[54:55], v[56:57], v[179:180]
	v_fma_f64 v[56:57], v[78:79], s[22:23], v[185:186]
	v_add_f64 v[58:59], v[22:23], v[183:184]
	v_add_f64 v[62:63], v[70:71], v[64:65]
	v_fma_f64 v[64:65], v[110:111], s[6:7], -v[189:190]
	v_fma_f64 v[70:71], v[92:93], s[20:21], -v[181:182]
	v_fma_f64 v[179:180], v[84:85], s[30:31], v[191:192]
	v_fma_f64 v[185:186], v[78:79], s[22:23], -v[185:186]
	v_fma_f64 v[191:192], v[84:85], s[30:31], -v[191:192]
	v_add_f64 v[187:188], v[22:23], v[187:188]
	v_add_f64 v[68:69], v[68:69], v[40:41]
	;; [unrolled: 1-line block ×6, first 2 shown]
	v_fma_f64 v[58:59], v[88:89], s[22:23], -v[193:194]
	v_add_f64 v[64:65], v[20:21], v[64:65]
	v_add_f64 v[48:49], v[52:53], v[62:63]
	v_mul_f64 v[62:63], v[142:143], s[28:29]
	v_add_f64 v[50:51], v[70:71], v[54:55]
	v_mul_f64 v[70:71], v[116:117], s[28:29]
	v_fma_f64 v[54:55], v[104:105], s[30:31], -v[177:178]
	v_add_f64 v[185:186], v[185:186], v[187:188]
	v_fma_f64 v[187:188], v[110:111], s[6:7], v[189:190]
	v_fma_f64 v[189:190], v[88:89], s[22:23], v[193:194]
	;; [unrolled: 1-line block ×3, first 2 shown]
	v_add_f64 v[68:69], v[68:69], v[36:37]
	v_add_f64 v[66:67], v[66:67], v[38:39]
	;; [unrolled: 1-line block ×4, first 2 shown]
	v_fma_f64 v[58:59], v[82:83], s[18:19], v[62:63]
	v_fma_f64 v[62:63], v[82:83], s[18:19], -v[62:63]
	v_add_f64 v[185:186], v[191:192], v[185:186]
	v_add_f64 v[187:188], v[20:21], v[187:188]
	;; [unrolled: 1-line block ×4, first 2 shown]
	v_fma_f64 v[54:55], v[94:95], s[18:19], -v[70:71]
	v_add_f64 v[56:57], v[58:59], v[56:57]
	v_mul_f64 v[58:59], v[140:141], s[16:17]
	v_fma_f64 v[70:71], v[94:95], s[18:19], v[70:71]
	v_add_f64 v[62:63], v[62:63], v[185:186]
	v_add_f64 v[187:188], v[189:190], v[187:188]
	v_mul_f64 v[189:190], v[136:137], s[40:41]
	v_add_f64 v[28:29], v[68:69], v[28:29]
	v_add_f64 v[52:53], v[54:55], v[52:53]
	v_fma_f64 v[54:55], v[80:81], s[8:9], v[58:59]
	v_fma_f64 v[58:59], v[80:81], s[8:9], -v[58:59]
	v_add_f64 v[177:178], v[177:178], v[187:188]
	v_fma_f64 v[193:194], v[84:85], s[22:23], v[189:190]
	v_mul_f64 v[187:188], v[142:143], s[34:35]
	v_fma_f64 v[189:190], v[84:85], s[22:23], -v[189:190]
	v_add_f64 v[54:55], v[54:55], v[56:57]
	v_mul_f64 v[56:57], v[114:115], s[16:17]
	v_add_f64 v[58:59], v[58:59], v[62:63]
	v_add_f64 v[70:71], v[70:71], v[177:178]
	v_mul_f64 v[177:178], v[140:141], s[52:53]
	v_fma_f64 v[191:192], v[82:83], s[30:31], v[187:188]
	v_fma_f64 v[187:188], v[82:83], s[30:31], -v[187:188]
	v_fma_f64 v[64:65], v[98:99], s[8:9], -v[56:57]
	v_fma_f64 v[56:57], v[98:99], s[8:9], v[56:57]
	v_add_f64 v[52:53], v[64:65], v[52:53]
	v_mul_f64 v[64:65], v[144:145], s[0:1]
	v_add_f64 v[56:57], v[56:57], v[70:71]
	v_fma_f64 v[179:180], v[86:87], s[4:5], v[64:65]
	v_fma_f64 v[62:63], v[86:87], s[4:5], -v[64:65]
	v_add_f64 v[54:55], v[179:180], v[54:55]
	v_mul_f64 v[179:180], v[118:119], s[0:1]
	v_add_f64 v[58:59], v[62:63], v[58:59]
	v_fma_f64 v[181:182], v[112:113], s[4:5], -v[179:180]
	v_fma_f64 v[62:63], v[112:113], s[4:5], v[179:180]
	v_mul_f64 v[179:180], v[132:133], s[14:15]
	v_add_f64 v[52:53], v[181:182], v[52:53]
	v_mul_f64 v[181:182], v[132:133], s[46:47]
	v_add_f64 v[56:57], v[62:63], v[56:57]
	v_fma_f64 v[183:184], v[90:91], s[20:21], v[181:182]
	v_fma_f64 v[62:63], v[90:91], s[20:21], -v[181:182]
	v_mul_f64 v[181:182], v[126:127], s[16:17]
	v_add_f64 v[54:55], v[183:184], v[54:55]
	v_mul_f64 v[183:184], v[122:123], s[46:47]
	v_add_f64 v[58:59], v[62:63], v[58:59]
	v_fma_f64 v[195:196], v[100:101], s[20:21], -v[183:184]
	v_fma_f64 v[62:63], v[100:101], s[20:21], v[183:184]
	v_mul_f64 v[183:184], v[96:97], s[26:27]
	v_add_f64 v[52:53], v[195:196], v[52:53]
	v_mul_f64 v[195:196], v[134:135], s[52:53]
	v_add_f64 v[56:57], v[62:63], v[56:57]
	v_fma_f64 v[62:63], v[80:81], s[36:37], v[177:178]
	v_fma_f64 v[185:186], v[88:89], s[20:21], -v[183:184]
	v_fma_f64 v[177:178], v[80:81], s[36:37], -v[177:178]
	v_fma_f64 v[197:198], v[92:93], s[36:37], v[195:196]
	v_fma_f64 v[64:65], v[92:93], s[36:37], -v[195:196]
	v_add_f64 v[54:55], v[197:198], v[54:55]
	v_mul_f64 v[197:198], v[120:121], s[52:53]
	v_add_f64 v[58:59], v[64:65], v[58:59]
	v_fma_f64 v[199:200], v[106:107], s[36:37], -v[197:198]
	v_fma_f64 v[70:71], v[106:107], s[36:37], v[197:198]
	v_add_f64 v[52:53], v[199:200], v[52:53]
	v_mul_f64 v[199:200], v[138:139], s[16:17]
	v_add_f64 v[56:57], v[70:71], v[56:57]
	v_mul_f64 v[70:71], v[144:145], s[48:49]
	v_fma_f64 v[201:202], v[102:103], s[8:9], v[199:200]
	v_fma_f64 v[199:200], v[102:103], s[8:9], -v[199:200]
	v_fma_f64 v[64:65], v[86:87], s[18:19], v[70:71]
	v_fma_f64 v[70:71], v[86:87], s[18:19], -v[70:71]
	v_add_f64 v[201:202], v[22:23], v[201:202]
	v_add_f64 v[199:200], v[22:23], v[199:200]
	;; [unrolled: 1-line block ×7, first 2 shown]
	v_fma_f64 v[64:65], v[90:91], s[6:7], v[179:180]
	v_fma_f64 v[179:180], v[90:91], s[6:7], -v[179:180]
	v_add_f64 v[64:65], v[64:65], v[62:63]
	v_fma_f64 v[62:63], v[110:111], s[8:9], -v[181:182]
	v_add_f64 v[62:63], v[20:21], v[62:63]
	v_add_f64 v[62:63], v[185:186], v[62:63]
	v_mul_f64 v[185:186], v[108:109], s[40:41]
	v_fma_f64 v[191:192], v[104:105], s[22:23], -v[185:186]
	v_add_f64 v[62:63], v[191:192], v[62:63]
	v_mul_f64 v[191:192], v[116:117], s[34:35]
	v_fma_f64 v[193:194], v[94:95], s[30:31], -v[191:192]
	;; [unrolled: 3-line block ×5, first 2 shown]
	v_add_f64 v[62:63], v[201:202], v[62:63]
	v_fma_f64 v[201:202], v[78:79], s[20:21], -v[203:204]
	v_add_f64 v[199:200], v[201:202], v[199:200]
	v_add_f64 v[189:190], v[189:190], v[199:200]
	v_add_f64 v[187:188], v[187:188], v[189:190]
	v_mul_f64 v[189:190], v[126:127], s[46:47]
	v_add_f64 v[177:178], v[177:178], v[187:188]
	v_add_f64 v[70:71], v[70:71], v[177:178]
	v_fma_f64 v[177:178], v[110:111], s[8:9], v[181:182]
	v_fma_f64 v[181:182], v[88:89], s[20:21], v[183:184]
	v_mul_f64 v[183:184], v[130:131], s[50:51]
	v_add_f64 v[42:43], v[179:180], v[70:71]
	v_add_f64 v[177:178], v[20:21], v[177:178]
	v_mul_f64 v[179:180], v[136:137], s[28:29]
	v_fma_f64 v[70:71], v[78:79], s[30:31], v[183:184]
	v_fma_f64 v[183:184], v[78:79], s[30:31], -v[183:184]
	v_add_f64 v[177:178], v[181:182], v[177:178]
	v_fma_f64 v[181:182], v[104:105], s[22:23], v[185:186]
	v_fma_f64 v[185:186], v[112:113], s[18:19], v[195:196]
	;; [unrolled: 1-line block ×3, first 2 shown]
	v_fma_f64 v[179:180], v[84:85], s[18:19], -v[179:180]
	v_add_f64 v[177:178], v[181:182], v[177:178]
	v_fma_f64 v[181:182], v[94:95], s[30:31], v[191:192]
	v_mul_f64 v[191:192], v[96:97], s[50:51]
	v_add_f64 v[177:178], v[181:182], v[177:178]
	v_fma_f64 v[181:182], v[98:99], s[36:37], v[193:194]
	v_fma_f64 v[193:194], v[88:89], s[30:31], -v[191:192]
	v_add_f64 v[177:178], v[181:182], v[177:178]
	v_mul_f64 v[181:182], v[138:139], s[46:47]
	v_add_f64 v[177:178], v[185:186], v[177:178]
	v_fma_f64 v[40:41], v[102:103], s[20:21], v[181:182]
	v_fma_f64 v[185:186], v[100:101], s[6:7], v[197:198]
	v_fma_f64 v[181:182], v[102:103], s[20:21], -v[181:182]
	v_add_f64 v[40:41], v[22:23], v[40:41]
	v_add_f64 v[181:182], v[22:23], v[181:182]
	;; [unrolled: 1-line block ×4, first 2 shown]
	v_mul_f64 v[177:178], v[142:143], s[24:25]
	v_add_f64 v[181:182], v[183:184], v[181:182]
	v_add_f64 v[183:184], v[66:67], v[34:35]
	;; [unrolled: 1-line block ×3, first 2 shown]
	v_mul_f64 v[187:188], v[144:145], s[52:53]
	v_fma_f64 v[185:186], v[82:83], s[4:5], v[177:178]
	v_add_f64 v[179:180], v[179:180], v[181:182]
	v_fma_f64 v[177:178], v[82:83], s[4:5], -v[177:178]
	v_fma_f64 v[181:182], v[88:89], s[30:31], v[191:192]
	v_add_f64 v[30:31], v[183:184], v[30:31]
	v_fma_f64 v[38:39], v[86:87], s[36:37], v[187:188]
	v_add_f64 v[70:71], v[185:186], v[70:71]
	v_mul_f64 v[185:186], v[140:141], s[14:15]
	v_add_f64 v[177:178], v[177:178], v[179:180]
	v_add_f64 v[26:27], v[30:31], v[26:27]
	;; [unrolled: 1-line block ×3, first 2 shown]
	v_mul_f64 v[24:25], v[108:109], s[16:17]
	v_fma_f64 v[36:37], v[80:81], s[6:7], v[185:186]
	v_fma_f64 v[179:180], v[80:81], s[6:7], -v[185:186]
	v_mul_f64 v[185:186], v[130:131], s[14:15]
	v_add_f64 v[18:19], v[26:27], v[18:19]
	v_add_f64 v[16:17], v[30:31], v[16:17]
	;; [unrolled: 1-line block ×3, first 2 shown]
	v_mul_f64 v[70:71], v[132:133], s[40:41]
	v_add_f64 v[177:178], v[179:180], v[177:178]
	v_fma_f64 v[179:180], v[86:87], s[36:37], -v[187:188]
	v_add_f64 v[14:15], v[18:19], v[14:15]
	v_add_f64 v[12:13], v[16:17], v[12:13]
	;; [unrolled: 1-line block ×3, first 2 shown]
	v_fma_f64 v[38:39], v[90:91], s[22:23], v[70:71]
	v_fma_f64 v[70:71], v[90:91], s[22:23], -v[70:71]
	v_add_f64 v[177:178], v[179:180], v[177:178]
	v_fma_f64 v[179:180], v[110:111], s[20:21], v[189:190]
	v_add_f64 v[10:11], v[14:15], v[10:11]
	v_add_f64 v[14:15], v[12:13], v[8:9]
	;; [unrolled: 1-line block ×3, first 2 shown]
	v_fma_f64 v[38:39], v[110:111], s[20:21], -v[189:190]
	v_add_f64 v[66:67], v[70:71], v[177:178]
	v_add_f64 v[179:180], v[20:21], v[179:180]
	v_fma_f64 v[70:71], v[78:79], s[6:7], v[185:186]
	v_mul_f64 v[177:178], v[136:137], s[26:27]
	v_fma_f64 v[185:186], v[78:79], s[6:7], -v[185:186]
	v_add_f64 v[38:39], v[20:21], v[38:39]
	v_add_f64 v[179:180], v[181:182], v[179:180]
	v_fma_f64 v[187:188], v[84:85], s[20:21], v[177:178]
	v_fma_f64 v[177:178], v[84:85], s[20:21], -v[177:178]
	v_add_f64 v[38:39], v[193:194], v[38:39]
	v_mul_f64 v[193:194], v[108:109], s[28:29]
	v_fma_f64 v[195:196], v[104:105], s[18:19], -v[193:194]
	v_fma_f64 v[181:182], v[104:105], s[18:19], v[193:194]
	v_mul_f64 v[193:194], v[96:97], s[14:15]
	v_add_f64 v[38:39], v[195:196], v[38:39]
	v_mul_f64 v[195:196], v[116:117], s[24:25]
	v_add_f64 v[179:180], v[181:182], v[179:180]
	v_fma_f64 v[197:198], v[94:95], s[4:5], -v[195:196]
	v_fma_f64 v[181:182], v[94:95], s[4:5], v[195:196]
	v_fma_f64 v[195:196], v[88:89], s[6:7], -v[193:194]
	v_add_f64 v[38:39], v[197:198], v[38:39]
	v_mul_f64 v[197:198], v[114:115], s[14:15]
	v_add_f64 v[179:180], v[181:182], v[179:180]
	v_fma_f64 v[199:200], v[98:99], s[6:7], -v[197:198]
	v_fma_f64 v[181:182], v[98:99], s[6:7], v[197:198]
	v_add_f64 v[38:39], v[199:200], v[38:39]
	v_mul_f64 v[199:200], v[118:119], s[52:53]
	v_add_f64 v[179:180], v[181:182], v[179:180]
	v_mul_f64 v[181:182], v[138:139], s[38:39]
	v_fma_f64 v[201:202], v[112:113], s[36:37], -v[199:200]
	v_fma_f64 v[34:35], v[112:113], s[36:37], v[199:200]
	v_fma_f64 v[32:33], v[102:103], s[36:37], v[181:182]
	v_fma_f64 v[181:182], v[102:103], s[36:37], -v[181:182]
	v_add_f64 v[38:39], v[201:202], v[38:39]
	v_mul_f64 v[201:202], v[122:123], s[40:41]
	v_add_f64 v[32:33], v[22:23], v[32:33]
	v_add_f64 v[34:35], v[34:35], v[179:180]
	v_add_f64 v[181:182], v[22:23], v[181:182]
	v_fma_f64 v[179:180], v[100:101], s[22:23], v[201:202]
	v_add_f64 v[70:71], v[70:71], v[32:33]
	v_fma_f64 v[203:204], v[100:101], s[22:23], -v[201:202]
	v_add_f64 v[181:182], v[185:186], v[181:182]
	v_mul_f64 v[185:186], v[94:95], s[20:21]
	v_add_f64 v[32:33], v[179:180], v[34:35]
	v_mul_f64 v[179:180], v[142:143], s[44:45]
	v_add_f64 v[34:35], v[187:188], v[70:71]
	v_add_f64 v[177:178], v[177:178], v[181:182]
	;; [unrolled: 1-line block ×3, first 2 shown]
	v_mul_f64 v[185:186], v[132:133], s[38:39]
	v_add_f64 v[38:39], v[203:204], v[38:39]
	v_fma_f64 v[70:71], v[82:83], s[22:23], v[179:180]
	v_fma_f64 v[179:180], v[82:83], s[22:23], -v[179:180]
	v_add_f64 v[172:173], v[172:173], -v[185:186]
	v_mul_f64 v[185:186], v[112:113], s[22:23]
	v_add_f64 v[34:35], v[70:71], v[34:35]
	v_mul_f64 v[70:71], v[140:141], s[24:25]
	v_add_f64 v[177:178], v[179:180], v[177:178]
	v_fma_f64 v[179:180], v[88:89], s[6:7], v[193:194]
	v_add_f64 v[152:153], v[185:186], v[152:153]
	v_mul_f64 v[185:186], v[134:135], s[16:17]
	v_fma_f64 v[187:188], v[80:81], s[4:5], v[70:71]
	v_fma_f64 v[70:71], v[80:81], s[4:5], -v[70:71]
	v_add_f64 v[34:35], v[187:188], v[34:35]
	v_mul_f64 v[187:188], v[144:145], s[34:35]
	v_add_f64 v[70:71], v[70:71], v[177:178]
	v_fma_f64 v[189:190], v[86:87], s[30:31], v[187:188]
	v_fma_f64 v[181:182], v[86:87], s[30:31], -v[187:188]
	v_add_f64 v[34:35], v[189:190], v[34:35]
	v_mul_f64 v[189:190], v[126:127], s[38:39]
	v_add_f64 v[70:71], v[181:182], v[70:71]
	v_fma_f64 v[191:192], v[110:111], s[36:37], -v[189:190]
	v_fma_f64 v[177:178], v[110:111], s[36:37], v[189:190]
	v_add_f64 v[191:192], v[20:21], v[191:192]
	v_add_f64 v[177:178], v[20:21], v[177:178]
	;; [unrolled: 1-line block ×3, first 2 shown]
	v_mul_f64 v[195:196], v[108:109], s[26:27]
	v_add_f64 v[177:178], v[179:180], v[177:178]
	v_mul_f64 v[108:109], v[108:109], s[24:25]
	v_fma_f64 v[179:180], v[104:105], s[20:21], v[195:196]
	v_fma_f64 v[197:198], v[104:105], s[20:21], -v[195:196]
	v_add_f64 v[177:178], v[179:180], v[177:178]
	v_mul_f64 v[179:180], v[138:139], s[24:25]
	v_add_f64 v[191:192], v[197:198], v[191:192]
	v_mul_f64 v[197:198], v[116:117], s[44:45]
	v_add_f64 v[160:161], v[160:161], -v[179:180]
	v_mul_f64 v[179:180], v[130:131], s[16:17]
	v_fma_f64 v[199:200], v[94:95], s[22:23], -v[197:198]
	v_add_f64 v[160:161], v[22:23], v[160:161]
	v_add_f64 v[162:163], v[162:163], -v[179:180]
	v_mul_f64 v[179:180], v[110:111], s[4:5]
	v_add_f64 v[191:192], v[199:200], v[191:192]
	v_add_f64 v[160:161], v[162:163], v[160:161]
	;; [unrolled: 1-line block ×3, first 2 shown]
	v_fma_f64 v[179:180], v[94:95], s[22:23], v[197:198]
	v_mul_f64 v[162:163], v[142:143], s[26:27]
	v_add_f64 v[60:61], v[60:61], v[160:161]
	v_add_f64 v[148:149], v[20:21], v[148:149]
	;; [unrolled: 1-line block ×3, first 2 shown]
	v_mul_f64 v[179:180], v[104:105], s[6:7]
	v_add_f64 v[162:163], v[166:167], -v[162:163]
	v_fma_f64 v[166:167], v[98:99], s[4:5], -v[170:171]
	v_mul_f64 v[160:161], v[118:119], s[34:35]
	v_fma_f64 v[170:171], v[98:99], s[4:5], v[170:171]
	v_add_f64 v[148:149], v[156:157], v[148:149]
	v_mul_f64 v[156:157], v[132:133], s[42:43]
	v_add_f64 v[154:155], v[179:180], v[154:155]
	v_mul_f64 v[179:180], v[140:141], s[28:29]
	v_add_f64 v[166:167], v[166:167], v[191:192]
	v_fma_f64 v[181:182], v[112:113], s[30:31], -v[160:161]
	v_add_f64 v[60:61], v[162:163], v[60:61]
	v_mul_f64 v[162:163], v[144:145], s[40:41]
	v_add_f64 v[170:171], v[170:171], v[177:178]
	v_fma_f64 v[160:161], v[112:113], s[30:31], v[160:161]
	v_mul_f64 v[177:178], v[138:139], s[48:49]
	v_mul_f64 v[138:139], v[138:139], s[40:41]
	v_add_f64 v[148:149], v[154:155], v[148:149]
	v_add_f64 v[164:165], v[164:165], -v[179:180]
	v_fma_f64 v[179:180], v[90:91], s[8:9], -v[156:157]
	v_mul_f64 v[154:155], v[126:127], s[48:49]
	v_mul_f64 v[126:127], v[126:127], s[40:41]
	v_add_f64 v[166:167], v[181:182], v[166:167]
	v_mul_f64 v[181:182], v[98:99], s[18:19]
	v_add_f64 v[162:163], v[168:169], -v[162:163]
	v_mul_f64 v[168:169], v[130:131], s[38:39]
	v_add_f64 v[160:161], v[160:161], v[170:171]
	v_fma_f64 v[170:171], v[102:103], s[18:19], v[177:178]
	v_fma_f64 v[177:178], v[102:103], s[18:19], -v[177:178]
	v_fma_f64 v[183:184], v[102:103], s[22:23], v[138:139]
	v_fma_f64 v[102:103], v[102:103], s[22:23], -v[138:139]
	v_mul_f64 v[130:131], v[130:131], s[48:49]
	v_add_f64 v[148:149], v[150:151], v[148:149]
	v_add_f64 v[60:61], v[164:165], v[60:61]
	v_mul_f64 v[164:165], v[100:101], s[36:37]
	v_add_f64 v[70:71], v[179:180], v[70:71]
	v_mul_f64 v[179:180], v[134:135], s[0:1]
	v_fma_f64 v[68:69], v[110:111], s[18:19], -v[154:155]
	v_fma_f64 v[154:155], v[110:111], s[18:19], v[154:155]
	v_fma_f64 v[138:139], v[110:111], s[22:23], -v[126:127]
	v_fma_f64 v[110:111], v[110:111], s[22:23], v[126:127]
	v_mul_f64 v[126:127], v[96:97], s[38:39]
	v_add_f64 v[146:147], v[181:182], v[146:147]
	v_mul_f64 v[96:97], v[96:97], s[48:49]
	v_add_f64 v[170:171], v[22:23], v[170:171]
	v_add_f64 v[183:184], v[22:23], v[183:184]
	v_fma_f64 v[187:188], v[78:79], s[18:19], -v[130:131]
	v_mul_f64 v[150:151], v[106:107], s[30:31]
	v_add_f64 v[60:61], v[162:163], v[60:61]
	v_add_f64 v[158:159], v[164:165], v[158:159]
	v_fma_f64 v[162:163], v[78:79], s[36:37], -v[168:169]
	v_add_f64 v[164:165], v[22:23], v[177:178]
	v_mul_f64 v[177:178], v[136:137], s[16:17]
	v_fma_f64 v[168:169], v[78:79], s[36:37], v[168:169]
	v_fma_f64 v[181:182], v[92:93], s[4:5], v[179:180]
	v_add_f64 v[68:69], v[20:21], v[68:69]
	v_add_f64 v[154:155], v[20:21], v[154:155]
	;; [unrolled: 1-line block ×4, first 2 shown]
	v_fma_f64 v[110:111], v[88:89], s[36:37], -v[126:127]
	v_mul_f64 v[136:137], v[136:137], s[24:25]
	v_fma_f64 v[126:127], v[88:89], s[36:37], v[126:127]
	v_fma_f64 v[28:29], v[88:89], s[18:19], v[96:97]
	v_add_f64 v[146:147], v[146:147], v[148:149]
	v_add_f64 v[138:139], v[20:21], v[138:139]
	v_fma_f64 v[78:79], v[78:79], s[18:19], v[130:131]
	v_fma_f64 v[179:180], v[92:93], s[4:5], -v[179:180]
	v_mul_f64 v[130:131], v[120:121], s[0:1]
	v_add_f64 v[60:61], v[172:173], v[60:61]
	v_add_f64 v[148:149], v[162:163], v[164:165]
	v_fma_f64 v[162:163], v[84:85], s[8:9], -v[177:178]
	v_add_f64 v[168:169], v[168:169], v[170:171]
	v_mul_f64 v[170:171], v[142:143], s[14:15]
	v_add_f64 v[20:21], v[181:182], v[64:65]
	v_fma_f64 v[64:65], v[88:89], s[18:19], -v[96:97]
	v_fma_f64 v[96:97], v[84:85], s[8:9], v[177:178]
	v_add_f64 v[22:23], v[187:188], v[22:23]
	v_add_f64 v[68:69], v[110:111], v[68:69]
	v_mul_f64 v[110:111], v[116:117], s[14:15]
	v_fma_f64 v[177:178], v[84:85], s[4:5], -v[136:137]
	v_mul_f64 v[142:143], v[142:143], s[38:39]
	v_add_f64 v[126:127], v[126:127], v[154:155]
	v_fma_f64 v[154:155], v[104:105], s[8:9], v[24:25]
	v_add_f64 v[28:29], v[28:29], v[102:103]
	v_fma_f64 v[102:103], v[104:105], s[4:5], v[108:109]
	v_mul_f64 v[116:117], v[116:117], s[38:39]
	v_fma_f64 v[181:182], v[104:105], s[8:9], -v[24:25]
	v_fma_f64 v[84:85], v[84:85], s[4:5], v[136:137]
	v_add_f64 v[78:79], v[78:79], v[183:184]
	v_add_f64 v[24:25], v[179:180], v[42:43]
	v_fma_f64 v[42:43], v[104:105], s[4:5], -v[108:109]
	v_mul_f64 v[104:105], v[140:141], s[50:51]
	v_add_f64 v[148:149], v[162:163], v[148:149]
	v_fma_f64 v[162:163], v[92:93], s[8:9], -v[185:186]
	v_fma_f64 v[136:137], v[82:83], s[6:7], -v[170:171]
	v_mul_f64 v[140:141], v[140:141], s[46:47]
	v_add_f64 v[64:65], v[64:65], v[138:139]
	v_add_f64 v[96:97], v[96:97], v[168:169]
	v_fma_f64 v[170:171], v[82:83], s[6:7], v[170:171]
	v_mul_f64 v[168:169], v[122:123], s[42:43]
	v_fma_f64 v[179:180], v[94:95], s[6:7], v[110:111]
	v_add_f64 v[22:23], v[177:178], v[22:23]
	v_fma_f64 v[110:111], v[94:95], s[6:7], -v[110:111]
	v_mul_f64 v[177:178], v[134:135], s[28:29]
	v_add_f64 v[126:127], v[154:155], v[126:127]
	v_fma_f64 v[154:155], v[82:83], s[36:37], -v[142:143]
	v_add_f64 v[102:103], v[102:103], v[28:29]
	v_fma_f64 v[82:83], v[82:83], s[36:37], v[142:143]
	v_add_f64 v[68:69], v[181:182], v[68:69]
	v_fma_f64 v[181:182], v[94:95], s[36:37], v[116:117]
	v_add_f64 v[78:79], v[84:85], v[78:79]
	v_fma_f64 v[94:95], v[94:95], s[36:37], -v[116:117]
	v_mul_f64 v[116:117], v[144:145], s[26:27]
	v_fma_f64 v[142:143], v[80:81], s[30:31], -v[104:105]
	v_mul_f64 v[144:145], v[144:145], s[16:17]
	v_add_f64 v[28:29], v[162:163], v[66:67]
	v_add_f64 v[136:137], v[136:137], v[148:149]
	v_mul_f64 v[148:149], v[114:115], s[46:47]
	v_mul_f64 v[114:115], v[114:115], s[50:51]
	v_add_f64 v[42:43], v[42:43], v[64:65]
	v_fma_f64 v[162:163], v[80:81], s[20:21], -v[140:141]
	v_add_f64 v[96:97], v[170:171], v[96:97]
	v_fma_f64 v[104:105], v[80:81], s[30:31], v[104:105]
	v_fma_f64 v[80:81], v[80:81], s[20:21], v[140:141]
	v_mul_f64 v[140:141], v[122:123], s[0:1]
	v_mul_f64 v[122:123], v[122:123], s[34:35]
	v_add_f64 v[126:127], v[179:180], v[126:127]
	v_add_f64 v[22:23], v[154:155], v[22:23]
	v_mul_f64 v[154:155], v[118:119], s[26:27]
	v_mul_f64 v[118:119], v[118:119], s[16:17]
	v_add_f64 v[68:69], v[110:111], v[68:69]
	v_add_f64 v[102:103], v[181:182], v[102:103]
	;; [unrolled: 1-line block ×3, first 2 shown]
	v_mul_f64 v[164:165], v[134:135], s[34:35]
	v_fma_f64 v[82:83], v[86:87], s[20:21], -v[116:117]
	v_fma_f64 v[116:117], v[86:87], s[20:21], v[116:117]
	v_mul_f64 v[84:85], v[120:121], s[28:29]
	v_fma_f64 v[64:65], v[100:101], s[8:9], -v[168:169]
	v_add_f64 v[136:137], v[142:143], v[136:137]
	v_fma_f64 v[170:171], v[98:99], s[20:21], v[148:149]
	v_fma_f64 v[110:111], v[98:99], s[30:31], v[114:115]
	v_fma_f64 v[114:115], v[98:99], s[30:31], -v[114:115]
	v_fma_f64 v[98:99], v[98:99], s[20:21], -v[148:149]
	v_add_f64 v[42:43], v[94:95], v[42:43]
	v_mul_f64 v[142:143], v[132:133], s[0:1]
	v_mul_f64 v[132:133], v[132:133], s[34:35]
	v_add_f64 v[96:97], v[104:105], v[96:97]
	v_mul_f64 v[104:105], v[120:121], s[44:45]
	v_fma_f64 v[168:169], v[100:101], s[8:9], v[168:169]
	v_add_f64 v[22:23], v[162:163], v[22:23]
	v_fma_f64 v[162:163], v[86:87], s[8:9], -v[144:145]
	v_fma_f64 v[26:27], v[112:113], s[8:9], v[118:119]
	v_fma_f64 v[94:95], v[112:113], s[20:21], v[154:155]
	;; [unrolled: 1-line block ×3, first 2 shown]
	v_add_f64 v[78:79], v[80:81], v[78:79]
	v_fma_f64 v[80:81], v[112:113], s[8:9], -v[118:119]
	v_fma_f64 v[118:119], v[100:101], s[30:31], v[122:123]
	v_mul_f64 v[88:89], v[120:121], s[16:17]
	v_fma_f64 v[66:67], v[90:91], s[8:9], v[156:157]
	v_fma_f64 v[156:157], v[92:93], s[18:19], -v[177:178]
	v_add_f64 v[82:83], v[82:83], v[136:137]
	v_add_f64 v[30:31], v[170:171], v[102:103]
	;; [unrolled: 1-line block ×3, first 2 shown]
	v_fma_f64 v[126:127], v[112:113], s[20:21], -v[154:155]
	v_add_f64 v[68:69], v[114:115], v[68:69]
	v_add_f64 v[42:43], v[98:99], v[42:43]
	v_mul_f64 v[110:111], v[134:135], s[44:45]
	v_fma_f64 v[114:115], v[90:91], s[4:5], -v[142:143]
	v_mul_f64 v[134:135], v[134:135], s[14:15]
	v_mul_f64 v[98:99], v[120:121], s[14:15]
	v_fma_f64 v[112:113], v[90:91], s[30:31], -v[132:133]
	v_fma_f64 v[136:137], v[100:101], s[4:5], v[140:141]
	v_add_f64 v[22:23], v[162:163], v[22:23]
	v_add_f64 v[96:97], v[116:117], v[96:97]
	v_fma_f64 v[116:117], v[100:101], s[4:5], -v[140:141]
	v_fma_f64 v[148:149], v[106:107], s[18:19], v[84:85]
	v_add_f64 v[78:79], v[86:87], v[78:79]
	v_fma_f64 v[86:87], v[100:101], s[30:31], -v[122:123]
	v_fma_f64 v[108:109], v[106:107], s[4:5], v[130:131]
	v_fma_f64 v[138:139], v[106:107], s[8:9], -v[88:89]
	v_fma_f64 v[88:89], v[106:107], s[8:9], v[88:89]
	;; [unrolled: 2-line block ×3, first 2 shown]
	v_add_f64 v[16:17], v[26:27], v[30:31]
	v_add_f64 v[18:19], v[94:95], v[102:103]
	;; [unrolled: 1-line block ×3, first 2 shown]
	v_fma_f64 v[102:103], v[90:91], s[4:5], v[142:143]
	v_add_f64 v[68:69], v[126:127], v[68:69]
	v_fma_f64 v[90:91], v[90:91], s[30:31], v[132:133]
	v_add_f64 v[42:43], v[80:81], v[42:43]
	v_add_f64 v[82:83], v[114:115], v[82:83]
	v_fma_f64 v[100:101], v[92:93], s[6:7], -v[134:135]
	v_fma_f64 v[120:121], v[92:93], s[22:23], -v[110:111]
	v_fma_f64 v[80:81], v[106:107], s[22:23], v[104:105]
	v_add_f64 v[22:23], v[112:113], v[22:23]
	v_fma_f64 v[112:113], v[106:107], s[6:7], v[98:99]
	v_add_f64 v[30:31], v[128:129], -v[164:165]
	v_add_f64 v[94:95], v[150:151], v[124:125]
	v_fma_f64 v[122:123], v[92:93], s[18:19], v[177:178]
	v_add_f64 v[34:35], v[66:67], v[34:35]
	v_fma_f64 v[84:85], v[106:107], s[18:19], -v[84:85]
	v_add_f64 v[124:125], v[64:65], v[166:167]
	v_fma_f64 v[110:111], v[92:93], s[22:23], v[110:111]
	v_fma_f64 v[92:93], v[92:93], s[6:7], v[134:135]
	v_add_f64 v[8:9], v[156:157], v[70:71]
	v_add_f64 v[114:115], v[118:119], v[16:17]
	;; [unrolled: 1-line block ×6, first 2 shown]
	v_fma_f64 v[102:103], v[106:107], s[22:23], -v[104:105]
	v_add_f64 v[104:105], v[116:117], v[68:69]
	v_add_f64 v[78:79], v[90:91], v[78:79]
	v_fma_f64 v[90:91], v[106:107], s[6:7], -v[98:99]
	v_add_f64 v[42:43], v[86:87], v[42:43]
	v_add_f64 v[70:71], v[10:11], v[6:7]
	;; [unrolled: 1-line block ×8, first 2 shown]
	v_mul_u32_u24_e32 v4, 0x110, v74
	v_add_f64 v[64:65], v[112:113], v[114:115]
	v_add_f64 v[14:15], v[80:81], v[18:19]
	;; [unrolled: 1-line block ×13, first 2 shown]
	v_add3_u32 v4, 0, v4, v176
	ds_write_b128 v4, v[68:71]
	ds_write_b128 v4, v[64:67] offset:16
	ds_write_b128 v4, v[14:17] offset:32
	ds_write_b128 v4, v[10:13] offset:48
	ds_write_b128 v4, v[6:9] offset:64
	ds_write_b128 v4, v[26:29] offset:80
	ds_write_b128 v4, v[22:25] offset:96
	ds_write_b128 v4, v[48:51] offset:112
	ds_write_b128 v4, v[56:59] offset:128
	ds_write_b128 v4, v[52:55] offset:144
	ds_write_b128 v4, v[44:47] offset:160
	ds_write_b128 v4, v[18:21] offset:176
	ds_write_b128 v4, v[30:33] offset:192
	ds_write_b128 v4, v[34:37] offset:208
	ds_write_b128 v4, v[0:3] offset:224
	ds_write_b128 v4, v[38:41] offset:240
	ds_write_b128 v4, v[60:63] offset:256
.LBB0_20:
	s_or_b32 exec_lo, exec_lo, s33
	v_add_nc_u16 v63, v74, 0x55
	v_add_nc_u16 v60, v74, 0xaa
	v_and_b32_e32 v4, 0xff, v74
	v_add_nc_u32_e32 v12, 0xff, v74
	v_add_nc_u32_e32 v13, 0x154, v74
	v_and_b32_e32 v5, 0xff, v63
	v_add_nc_u32_e32 v14, 0x1a9, v74
	v_mul_lo_u16 v65, 0xf1, v4
	v_mov_b32_e32 v4, 0xf0f1
	v_add_nc_u32_e32 v15, 0x1fe, v74
	v_mul_lo_u16 v64, 0xf1, v5
	v_and_b32_e32 v5, 0xff, v60
	v_lshrrev_b16 v114, 12, v65
	v_mul_u32_u24_sdwa v6, v12, v4 dst_sel:DWORD dst_unused:UNUSED_PAD src0_sel:WORD_0 src1_sel:DWORD
	v_mul_u32_u24_sdwa v9, v13, v4 dst_sel:DWORD dst_unused:UNUSED_PAD src0_sel:WORD_0 src1_sel:DWORD
	v_lshrrev_b16 v115, 12, v64
	v_mul_lo_u16 v61, 0xf1, v5
	v_mul_u32_u24_sdwa v10, v14, v4 dst_sel:DWORD dst_unused:UNUSED_PAD src0_sel:WORD_0 src1_sel:DWORD
	v_lshrrev_b32_e32 v116, 20, v6
	v_mul_lo_u16 v7, v114, 17
	v_mul_u32_u24_sdwa v16, v15, v4 dst_sel:DWORD dst_unused:UNUSED_PAD src0_sel:WORD_0 src1_sel:DWORD
	v_lshrrev_b16 v117, 12, v61
	v_mul_lo_u16 v8, v115, 17
	v_lshrrev_b32_e32 v120, 20, v9
	v_lshrrev_b32_e32 v121, 20, v10
	v_mul_lo_u16 v18, v116, 17
	v_mul_lo_u16 v17, v117, 17
	v_mov_b32_e32 v62, 4
	v_sub_nc_u16 v5, v74, v7
	v_lshrrev_b32_e32 v122, 20, v16
	v_sub_nc_u16 v7, v63, v8
	v_mul_lo_u16 v16, v120, 17
	v_sub_nc_u16 v17, v60, v17
	v_mul_lo_u16 v19, v121, 17
	v_sub_nc_u16 v12, v12, v18
	v_lshlrev_b32_sdwa v118, v62, v5 dst_sel:DWORD dst_unused:UNUSED_PAD src0_sel:DWORD src1_sel:BYTE_0
	v_mul_lo_u16 v18, v122, 17
	v_lshlrev_b32_sdwa v119, v62, v7 dst_sel:DWORD dst_unused:UNUSED_PAD src0_sel:DWORD src1_sel:BYTE_0
	v_sub_nc_u16 v13, v13, v16
	v_lshlrev_b32_sdwa v123, v62, v17 dst_sel:DWORD dst_unused:UNUSED_PAD src0_sel:DWORD src1_sel:BYTE_0
	v_sub_nc_u16 v16, v14, v19
	v_lshlrev_b32_sdwa v124, v62, v12 dst_sel:DWORD dst_unused:UNUSED_PAD src0_sel:DWORD src1_sel:WORD_0
	s_waitcnt lgkmcnt(0)
	s_barrier
	buffer_gl0_inv
	s_clause 0x1
	global_load_dwordx4 v[4:7], v118, s[12:13]
	global_load_dwordx4 v[8:11], v119, s[12:13]
	v_sub_nc_u16 v20, v15, v18
	v_lshlrev_b32_sdwa v125, v62, v13 dst_sel:DWORD dst_unused:UNUSED_PAD src0_sel:DWORD src1_sel:WORD_0
	global_load_dwordx4 v[12:15], v123, s[12:13]
	v_lshlrev_b32_sdwa v126, v62, v16 dst_sel:DWORD dst_unused:UNUSED_PAD src0_sel:DWORD src1_sel:WORD_0
	global_load_dwordx4 v[16:19], v124, s[12:13]
	v_lshlrev_b32_sdwa v127, v62, v20 dst_sel:DWORD dst_unused:UNUSED_PAD src0_sel:DWORD src1_sel:WORD_0
	s_clause 0x2
	global_load_dwordx4 v[20:23], v125, s[12:13]
	global_load_dwordx4 v[24:27], v126, s[12:13]
	;; [unrolled: 1-line block ×3, first 2 shown]
	ds_read_b128 v[32:35], v75 offset:9520
	ds_read_b128 v[36:39], v75 offset:10880
	;; [unrolled: 1-line block ×8, first 2 shown]
	ds_read_b128 v[78:81], v175
	ds_read_b128 v[82:85], v75 offset:1360
	ds_read_b128 v[86:89], v75 offset:2720
	;; [unrolled: 1-line block ×5, first 2 shown]
	s_waitcnt vmcnt(0) lgkmcnt(0)
	s_barrier
	buffer_gl0_inv
	v_cmp_gt_u32_e64 s0, 0x44, v74
	v_mul_f64 v[70:71], v[34:35], v[6:7]
	v_mul_f64 v[6:7], v[32:33], v[6:7]
	;; [unrolled: 1-line block ×14, first 2 shown]
	v_fma_f64 v[32:33], v[32:33], v[4:5], v[70:71]
	v_fma_f64 v[4:5], v[34:35], v[4:5], -v[6:7]
	v_fma_f64 v[6:7], v[36:37], v[8:9], v[102:103]
	v_fma_f64 v[8:9], v[38:39], v[8:9], -v[10:11]
	;; [unrolled: 2-line block ×7, first 2 shown]
	v_and_b32_e32 v48, 0xffff, v114
	v_mad_u32_u24 v70, 0x220, v116, 0
	v_mad_u32_u24 v71, 0x220, v120, 0
	;; [unrolled: 1-line block ×4, first 2 shown]
	v_add_f64 v[20:21], v[78:79], -v[32:33]
	v_add_f64 v[22:23], v[80:81], -v[4:5]
	;; [unrolled: 1-line block ×14, first 2 shown]
	v_mad_u32_u24 v6, 0x220, v48, 0
	v_and_b32_e32 v4, 0xffff, v115
	v_and_b32_e32 v5, 0xffff, v117
	v_add3_u32 v106, v6, v118, v176
	v_mad_u32_u24 v104, 0x220, v4, 0
	v_mad_u32_u24 v105, 0x220, v5, 0
	v_fma_f64 v[40:41], v[78:79], 2.0, -v[20:21]
	v_fma_f64 v[42:43], v[80:81], 2.0, -v[22:23]
	;; [unrolled: 1-line block ×14, first 2 shown]
	v_add3_u32 v66, v70, v124, v176
	v_add3_u32 v70, v104, v119, v176
	;; [unrolled: 1-line block ×6, first 2 shown]
	ds_write_b128 v106, v[20:23] offset:272
	ds_write_b128 v106, v[40:43]
	ds_write_b128 v70, v[24:27] offset:272
	ds_write_b128 v70, v[44:47]
	ds_write_b128 v71, v[48:51]
	ds_write_b128 v71, v[28:31] offset:272
	ds_write_b128 v66, v[52:55]
	ds_write_b128 v66, v[32:35] offset:272
	;; [unrolled: 2-line block ×5, first 2 shown]
	s_waitcnt lgkmcnt(0)
	s_barrier
	buffer_gl0_inv
	ds_read_b128 v[24:27], v175
	ds_read_b128 v[20:23], v75 offset:1360
	ds_read_b128 v[48:51], v75 offset:3808
	;; [unrolled: 1-line block ×9, first 2 shown]
	s_and_saveexec_b32 s1, s0
	s_cbranch_execz .LBB0_22
; %bb.21:
	ds_read_b128 v[4:7], v75 offset:2720
	ds_read_b128 v[8:11], v75 offset:6528
	ds_read_b128 v[16:19], v75 offset:10336
	ds_read_b128 v[12:15], v75 offset:14144
	ds_read_b128 v[0:3], v75 offset:17952
.LBB0_22:
	s_or_b32 exec_lo, exec_lo, s1
	v_lshrrev_b16 v130, 13, v65
	v_lshrrev_b16 v132, 13, v64
	v_mov_b32_e32 v65, 6
	s_mov_b32 s6, 0x134454ff
	s_mov_b32 s7, 0xbfee6f0e
	v_mul_lo_u16 v66, v130, 34
	v_mul_lo_u16 v70, v132, 34
	s_mov_b32 s15, 0x3fee6f0e
	s_mov_b32 s14, s6
	;; [unrolled: 1-line block ×3, first 2 shown]
	v_sub_nc_u16 v131, v74, v66
	v_sub_nc_u16 v133, v63, v70
	s_mov_b32 s5, 0xbfe2cf23
	s_mov_b32 s9, 0x3fe2cf23
	;; [unrolled: 1-line block ×3, first 2 shown]
	v_lshlrev_b32_sdwa v64, v65, v131 dst_sel:DWORD dst_unused:UNUSED_PAD src0_sel:DWORD src1_sel:BYTE_0
	v_lshlrev_b32_sdwa v63, v65, v133 dst_sel:DWORD dst_unused:UNUSED_PAD src0_sel:DWORD src1_sel:BYTE_0
	s_mov_b32 s16, 0x372fe950
	s_mov_b32 s17, 0x3fd3c6ef
	s_clause 0x7
	global_load_dwordx4 v[66:69], v64, s[12:13] offset:272
	global_load_dwordx4 v[78:81], v64, s[12:13] offset:288
	;; [unrolled: 1-line block ×8, first 2 shown]
	s_waitcnt vmcnt(0) lgkmcnt(0)
	s_barrier
	buffer_gl0_inv
	v_mul_f64 v[110:111], v[30:31], v[92:93]
	v_mul_f64 v[70:71], v[54:55], v[80:81]
	;; [unrolled: 1-line block ×16, first 2 shown]
	v_fma_f64 v[28:29], v[28:29], v[90:91], v[110:111]
	v_fma_f64 v[52:53], v[52:53], v[78:79], v[70:71]
	v_fma_f64 v[54:55], v[54:55], v[78:79], -v[80:81]
	v_fma_f64 v[44:45], v[44:45], v[82:83], v[106:107]
	v_fma_f64 v[46:47], v[46:47], v[82:83], -v[84:85]
	;; [unrolled: 2-line block ×3, first 2 shown]
	v_fma_f64 v[58:59], v[58:59], v[86:87], -v[108:109]
	v_fma_f64 v[56:57], v[56:57], v[86:87], v[88:89]
	v_fma_f64 v[32:33], v[32:33], v[94:95], v[112:113]
	v_fma_f64 v[34:35], v[34:35], v[94:95], -v[96:97]
	v_fma_f64 v[36:37], v[36:37], v[98:99], v[114:115]
	v_fma_f64 v[38:39], v[38:39], v[98:99], -v[100:101]
	v_fma_f64 v[30:31], v[30:31], v[90:91], -v[92:93]
	v_fma_f64 v[40:41], v[40:41], v[102:103], v[116:117]
	v_fma_f64 v[42:43], v[42:43], v[102:103], -v[104:105]
	v_add_f64 v[104:105], v[20:21], v[28:29]
	v_add_f64 v[66:67], v[52:53], v[44:45]
	;; [unrolled: 1-line block ×4, first 2 shown]
	v_add_f64 v[78:79], v[48:49], -v[52:53]
	v_add_f64 v[98:99], v[50:51], v[58:59]
	v_add_f64 v[82:83], v[48:49], v[56:57]
	v_add_f64 v[80:81], v[56:57], -v[44:45]
	v_add_f64 v[88:89], v[26:27], v[50:51]
	v_add_f64 v[102:103], v[32:33], v[36:37]
	;; [unrolled: 1-line block ×3, first 2 shown]
	v_add_f64 v[68:69], v[50:51], -v[58:59]
	v_add_f64 v[106:107], v[28:29], v[40:41]
	v_add_f64 v[114:115], v[30:31], v[42:43]
	v_add_f64 v[84:85], v[52:53], -v[48:49]
	v_add_f64 v[86:87], v[44:45], -v[56:57]
	;; [unrolled: 1-line block ×9, first 2 shown]
	v_fma_f64 v[66:67], v[66:67], -0.5, v[24:25]
	v_fma_f64 v[90:91], v[90:91], -0.5, v[26:27]
	v_add_f64 v[124:125], v[22:23], v[30:31]
	v_add_f64 v[108:109], v[30:31], -v[42:43]
	v_fma_f64 v[26:27], v[98:99], -0.5, v[26:27]
	v_fma_f64 v[24:25], v[82:83], -0.5, v[24:25]
	v_add_f64 v[116:117], v[28:29], -v[32:33]
	v_add_f64 v[120:121], v[32:33], -v[28:29]
	;; [unrolled: 1-line block ×3, first 2 shown]
	v_fma_f64 v[102:103], v[102:103], -0.5, v[20:21]
	v_add_f64 v[52:53], v[63:64], v[52:53]
	v_add_f64 v[63:64], v[78:79], v[80:81]
	v_fma_f64 v[78:79], v[110:111], -0.5, v[22:23]
	v_add_f64 v[112:113], v[34:35], -v[38:39]
	v_add_f64 v[118:119], v[40:41], -v[36:37]
	;; [unrolled: 1-line block ×3, first 2 shown]
	v_fma_f64 v[20:21], v[106:107], -0.5, v[20:21]
	v_fma_f64 v[22:23], v[114:115], -0.5, v[22:23]
	v_add_f64 v[128:129], v[30:31], -v[34:35]
	v_add_f64 v[30:31], v[34:35], -v[30:31]
	;; [unrolled: 1-line block ×3, first 2 shown]
	v_add_f64 v[54:55], v[88:89], v[54:55]
	v_add_f64 v[80:81], v[84:85], v[86:87]
	;; [unrolled: 1-line block ×5, first 2 shown]
	v_fma_f64 v[94:95], v[68:69], s[6:7], v[66:67]
	v_fma_f64 v[100:101], v[48:49], s[14:15], v[90:91]
	v_add_f64 v[34:35], v[124:125], v[34:35]
	v_fma_f64 v[66:67], v[68:69], s[14:15], v[66:67]
	v_fma_f64 v[96:97], v[70:71], s[14:15], v[24:25]
	;; [unrolled: 1-line block ×6, first 2 shown]
	v_add_f64 v[82:83], v[42:43], -v[38:39]
	v_fma_f64 v[106:107], v[108:109], s[6:7], v[102:103]
	v_fma_f64 v[114:115], v[28:29], s[14:15], v[78:79]
	v_add_f64 v[122:123], v[36:37], -v[40:41]
	v_add_f64 v[86:87], v[116:117], v[118:119]
	v_fma_f64 v[110:111], v[112:113], s[14:15], v[20:21]
	v_fma_f64 v[116:117], v[126:127], s[6:7], v[22:23]
	;; [unrolled: 1-line block ×6, first 2 shown]
	v_add_f64 v[98:99], v[30:31], v[98:99]
	v_add_f64 v[30:31], v[52:53], v[44:45]
	v_add_f64 v[44:45], v[54:55], v[46:47]
	v_add_f64 v[32:33], v[32:33], v[36:37]
	v_fma_f64 v[36:37], v[70:71], s[4:5], v[94:95]
	v_fma_f64 v[54:55], v[92:93], s[8:9], v[100:101]
	v_add_f64 v[34:35], v[34:35], v[38:39]
	v_fma_f64 v[38:39], v[70:71], s[8:9], v[66:67]
	v_fma_f64 v[46:47], v[68:69], s[4:5], v[96:97]
	;; [unrolled: 1-line block ×6, first 2 shown]
	v_add_f64 v[82:83], v[128:129], v[82:83]
	v_fma_f64 v[70:71], v[112:113], s[4:5], v[106:107]
	v_fma_f64 v[96:97], v[126:127], s[8:9], v[114:115]
	v_add_f64 v[88:89], v[120:121], v[122:123]
	v_fma_f64 v[92:93], v[108:109], s[4:5], v[110:111]
	v_fma_f64 v[100:101], v[28:29], s[8:9], v[116:117]
	;; [unrolled: 1-line block ×6, first 2 shown]
	v_add_f64 v[20:21], v[30:31], v[56:57]
	v_add_f64 v[22:23], v[44:45], v[58:59]
	;; [unrolled: 1-line block ×3, first 2 shown]
	v_fma_f64 v[28:29], v[63:64], s[16:17], v[36:37]
	v_fma_f64 v[30:31], v[84:85], s[16:17], v[54:55]
	v_add_f64 v[26:27], v[34:35], v[42:43]
	v_fma_f64 v[32:33], v[63:64], s[16:17], v[38:39]
	v_fma_f64 v[36:37], v[80:81], s[16:17], v[46:47]
	;; [unrolled: 1-line block ×6, first 2 shown]
	v_and_b32_e32 v104, 0xffff, v130
	v_fma_f64 v[44:45], v[86:87], s[16:17], v[70:71]
	v_fma_f64 v[46:47], v[82:83], s[16:17], v[96:97]
	v_and_b32_e32 v63, 0xffff, v132
	v_fma_f64 v[52:53], v[88:89], s[16:17], v[92:93]
	v_fma_f64 v[54:55], v[98:99], s[16:17], v[100:101]
	;; [unrolled: 1-line block ×6, first 2 shown]
	v_mad_u32_u24 v64, 0xaa0, v104, 0
	v_lshlrev_b32_sdwa v66, v62, v131 dst_sel:DWORD dst_unused:UNUSED_PAD src0_sel:DWORD src1_sel:BYTE_0
	v_mad_u32_u24 v63, 0xaa0, v63, 0
	v_lshlrev_b32_sdwa v62, v62, v133 dst_sel:DWORD dst_unused:UNUSED_PAD src0_sel:DWORD src1_sel:BYTE_0
	v_add3_u32 v64, v64, v66, v176
	v_add3_u32 v62, v63, v62, v176
	ds_write_b128 v64, v[20:23]
	ds_write_b128 v64, v[28:31] offset:544
	ds_write_b128 v64, v[36:39] offset:1088
	;; [unrolled: 1-line block ×4, first 2 shown]
	ds_write_b128 v62, v[24:27]
	ds_write_b128 v62, v[44:47] offset:544
	ds_write_b128 v62, v[52:55] offset:1088
	ds_write_b128 v62, v[56:59] offset:1632
	ds_write_b128 v62, v[48:51] offset:2176
	s_and_saveexec_b32 s1, s0
	s_cbranch_execz .LBB0_24
; %bb.23:
	v_lshrrev_b16 v52, 13, v61
	v_mul_lo_u16 v20, v52, 34
	v_sub_nc_u16 v53, v60, v20
	v_lshlrev_b32_sdwa v32, v65, v53 dst_sel:DWORD dst_unused:UNUSED_PAD src0_sel:DWORD src1_sel:BYTE_0
	s_clause 0x3
	global_load_dwordx4 v[20:23], v32, s[12:13] offset:288
	global_load_dwordx4 v[24:27], v32, s[12:13] offset:272
	;; [unrolled: 1-line block ×4, first 2 shown]
	s_waitcnt vmcnt(3)
	v_mul_f64 v[36:37], v[16:17], v[22:23]
	s_waitcnt vmcnt(2)
	v_mul_f64 v[38:39], v[8:9], v[26:27]
	;; [unrolled: 2-line block ×4, first 2 shown]
	v_mul_f64 v[22:23], v[18:19], v[22:23]
	v_mul_f64 v[34:35], v[14:15], v[34:35]
	;; [unrolled: 1-line block ×4, first 2 shown]
	v_fma_f64 v[18:19], v[18:19], v[20:21], -v[36:37]
	v_fma_f64 v[10:11], v[10:11], v[24:25], -v[38:39]
	;; [unrolled: 1-line block ×4, first 2 shown]
	v_fma_f64 v[16:17], v[16:17], v[20:21], v[22:23]
	v_fma_f64 v[12:13], v[12:13], v[32:33], v[34:35]
	;; [unrolled: 1-line block ×4, first 2 shown]
	v_add_f64 v[32:33], v[6:7], v[10:11]
	v_add_f64 v[20:21], v[10:11], v[2:3]
	;; [unrolled: 1-line block ×3, first 2 shown]
	v_add_f64 v[36:37], v[10:11], -v[2:3]
	v_add_f64 v[24:25], v[16:17], v[12:13]
	v_add_f64 v[34:35], v[4:5], v[8:9]
	;; [unrolled: 1-line block ×3, first 2 shown]
	v_add_f64 v[28:29], v[16:17], -v[12:13]
	v_add_f64 v[30:31], v[8:9], -v[0:1]
	;; [unrolled: 1-line block ×8, first 2 shown]
	v_fma_f64 v[20:21], v[20:21], -0.5, v[6:7]
	v_fma_f64 v[6:7], v[22:23], -0.5, v[6:7]
	v_add_f64 v[22:23], v[18:19], -v[14:15]
	v_fma_f64 v[24:25], v[24:25], -0.5, v[4:5]
	v_add_f64 v[16:17], v[34:35], v[16:17]
	v_fma_f64 v[4:5], v[26:27], -0.5, v[4:5]
	v_add_f64 v[26:27], v[18:19], -v[10:11]
	v_add_f64 v[10:11], v[10:11], -v[18:19]
	v_add_f64 v[18:19], v[32:33], v[18:19]
	v_fma_f64 v[32:33], v[28:29], s[14:15], v[20:21]
	v_fma_f64 v[20:21], v[28:29], s[6:7], v[20:21]
	;; [unrolled: 1-line block ×8, first 2 shown]
	v_add_f64 v[26:27], v[26:27], v[38:39]
	v_add_f64 v[38:39], v[10:11], v[40:41]
	;; [unrolled: 1-line block ×6, first 2 shown]
	v_fma_f64 v[12:13], v[30:31], s[4:5], v[32:33]
	v_fma_f64 v[14:15], v[30:31], s[8:9], v[20:21]
	;; [unrolled: 1-line block ×8, first 2 shown]
	v_add_f64 v[2:3], v[8:9], v[2:3]
	v_add_f64 v[0:1], v[10:11], v[0:1]
	v_fma_f64 v[6:7], v[26:27], s[16:17], v[12:13]
	v_fma_f64 v[10:11], v[26:27], s[16:17], v[14:15]
	;; [unrolled: 1-line block ×8, first 2 shown]
	v_and_b32_e32 v20, 0xffff, v52
	v_mov_b32_e32 v21, 4
	v_mad_u32_u24 v20, 0xaa0, v20, 0
	v_lshlrev_b32_sdwa v21, v21, v53 dst_sel:DWORD dst_unused:UNUSED_PAD src0_sel:DWORD src1_sel:BYTE_0
	v_add3_u32 v20, v20, v21, v176
	ds_write_b128 v20, v[0:3]
	ds_write_b128 v20, v[16:19] offset:544
	ds_write_b128 v20, v[8:11] offset:1088
	;; [unrolled: 1-line block ×4, first 2 shown]
.LBB0_24:
	s_or_b32 exec_lo, exec_lo, s1
	v_mul_u32_u24_e32 v0, 6, v74
	s_waitcnt lgkmcnt(0)
	s_barrier
	buffer_gl0_inv
	s_mov_b32 s8, 0x37e14327
	v_lshlrev_b32_e32 v0, 4, v0
	s_mov_b32 s18, 0xe976ee23
	s_mov_b32 s4, 0x429ad128
	;; [unrolled: 1-line block ×4, first 2 shown]
	v_add_co_u32 v28, s0, s12, v0
	v_add_co_ci_u32_e64 v29, null, s13, 0, s0
	s_mov_b32 s5, 0xbfebfeb5
	v_add_co_u32 v12, s0, 0x990, v28
	v_add_co_ci_u32_e64 v13, s0, 0, v29, s0
	v_add_co_u32 v16, s0, 0x800, v28
	v_add_co_ci_u32_e64 v17, s0, 0, v29, s0
	;; [unrolled: 2-line block ×4, first 2 shown]
	v_add_co_u32 v40, s0, 0x2970, v28
	s_clause 0x5
	global_load_dwordx4 v[0:3], v[16:17], off offset:400
	global_load_dwordx4 v[4:7], v[12:13], off offset:48
	;; [unrolled: 1-line block ×6, first 2 shown]
	v_add_co_ci_u32_e64 v41, s0, 0, v29, s0
	v_add_co_u32 v36, s0, 0x29b0, v28
	v_add_co_ci_u32_e64 v37, s0, 0, v29, s0
	s_clause 0x5
	global_load_dwordx4 v[24:27], v[44:45], off offset:368
	global_load_dwordx4 v[28:31], v[40:41], off offset:16
	;; [unrolled: 1-line block ×6, first 2 shown]
	ds_read_b128 v[48:51], v175
	ds_read_b128 v[52:55], v75 offset:1360
	ds_read_b128 v[56:59], v75 offset:2720
	;; [unrolled: 1-line block ×13, first 2 shown]
	s_mov_b32 s0, 0x36b3c0b5
	s_mov_b32 s1, 0x3fac98ee
	;; [unrolled: 1-line block ×14, first 2 shown]
	s_waitcnt vmcnt(0) lgkmcnt(0)
	s_barrier
	buffer_gl0_inv
	v_mul_f64 v[110:111], v[58:59], v[2:3]
	v_mul_f64 v[2:3], v[56:57], v[2:3]
	;; [unrolled: 1-line block ×24, first 2 shown]
	v_fma_f64 v[56:57], v[56:57], v[0:1], v[110:111]
	v_fma_f64 v[0:1], v[58:59], v[0:1], -v[2:3]
	v_fma_f64 v[2:3], v[64:65], v[12:13], v[112:113]
	v_fma_f64 v[12:13], v[66:67], v[12:13], -v[14:15]
	;; [unrolled: 2-line block ×12, first 2 shown]
	v_add_f64 v[42:43], v[56:57], v[14:15]
	v_add_f64 v[58:59], v[0:1], v[20:21]
	v_add_f64 v[60:61], v[2:3], v[22:23]
	v_add_f64 v[62:63], v[12:13], v[16:17]
	v_add_f64 v[14:15], v[56:57], -v[14:15]
	v_add_f64 v[0:1], v[0:1], -v[20:21]
	v_add_f64 v[20:21], v[18:19], v[10:11]
	v_add_f64 v[56:57], v[8:9], v[4:5]
	v_add_f64 v[2:3], v[2:3], -v[22:23]
	v_add_f64 v[12:13], v[12:13], -v[16:17]
	v_add_f64 v[10:11], v[10:11], -v[18:19]
	v_add_f64 v[4:5], v[4:5], -v[8:9]
	v_add_f64 v[8:9], v[6:7], v[26:27]
	v_add_f64 v[16:17], v[24:25], v[36:37]
	v_add_f64 v[18:19], v[24:25], -v[36:37]
	v_add_f64 v[22:23], v[38:39], v[30:31]
	v_add_f64 v[24:25], v[28:29], v[44:45]
	v_add_f64 v[6:7], v[6:7], -v[26:27]
	v_add_f64 v[26:27], v[38:39], -v[30:31]
	v_add_f64 v[36:37], v[32:33], v[40:41]
	v_add_f64 v[32:33], v[40:41], -v[32:33]
	v_add_f64 v[28:29], v[28:29], -v[44:45]
	v_add_f64 v[30:31], v[46:47], v[34:35]
	v_add_f64 v[34:35], v[34:35], -v[46:47]
	v_add_f64 v[38:39], v[60:61], v[42:43]
	v_add_f64 v[40:41], v[62:63], v[58:59]
	v_add_f64 v[44:45], v[60:61], -v[42:43]
	v_add_f64 v[46:47], v[62:63], -v[58:59]
	;; [unrolled: 1-line block ×6, first 2 shown]
	v_add_f64 v[64:65], v[10:11], v[2:3]
	v_add_f64 v[66:67], v[4:5], v[12:13]
	v_add_f64 v[68:69], v[10:11], -v[2:3]
	v_add_f64 v[70:71], v[4:5], -v[12:13]
	;; [unrolled: 1-line block ×3, first 2 shown]
	v_add_f64 v[2:3], v[22:23], v[8:9]
	v_add_f64 v[4:5], v[24:25], v[16:17]
	v_add_f64 v[62:63], v[56:57], -v[62:63]
	v_add_f64 v[12:13], v[12:13], -v[0:1]
	;; [unrolled: 1-line block ×7, first 2 shown]
	v_add_f64 v[20:21], v[20:21], v[38:39]
	v_add_f64 v[38:39], v[56:57], v[40:41]
	v_add_f64 v[24:25], v[36:37], -v[24:25]
	v_add_f64 v[86:87], v[34:35], v[26:27]
	v_add_f64 v[88:89], v[32:33], v[28:29]
	v_add_f64 v[90:91], v[34:35], -v[26:27]
	v_add_f64 v[92:93], v[32:33], -v[28:29]
	;; [unrolled: 1-line block ×5, first 2 shown]
	v_add_f64 v[14:15], v[64:65], v[14:15]
	v_add_f64 v[40:41], v[66:67], v[0:1]
	v_mul_f64 v[42:43], v[42:43], s[8:9]
	v_add_f64 v[30:31], v[30:31], v[2:3]
	v_add_f64 v[36:37], v[36:37], v[4:5]
	v_mul_f64 v[56:57], v[58:59], s[8:9]
	v_mul_f64 v[58:59], v[60:61], s[0:1]
	v_mul_f64 v[64:65], v[62:63], s[0:1]
	v_mul_f64 v[66:67], v[68:69], s[18:19]
	v_mul_f64 v[68:69], v[70:71], s[18:19]
	v_mul_f64 v[94:95], v[12:13], s[4:5]
	v_mul_f64 v[70:71], v[80:81], s[4:5]
	v_add_f64 v[0:1], v[48:49], v[20:21]
	v_add_f64 v[2:3], v[50:51], v[38:39]
	v_add_f64 v[34:35], v[6:7], -v[34:35]
	v_add_f64 v[32:33], v[18:19], -v[32:33]
	v_add_f64 v[86:87], v[86:87], v[6:7]
	v_add_f64 v[18:19], v[88:89], v[18:19]
	v_mul_f64 v[8:9], v[8:9], s[8:9]
	v_mul_f64 v[16:17], v[16:17], s[8:9]
	;; [unrolled: 1-line block ×7, first 2 shown]
	v_add_f64 v[4:5], v[52:53], v[30:31]
	v_add_f64 v[6:7], v[54:55], v[36:37]
	v_mul_f64 v[50:51], v[24:25], s[0:1]
	v_fma_f64 v[60:61], v[60:61], s[0:1], v[42:43]
	v_fma_f64 v[62:63], v[62:63], s[0:1], v[56:57]
	v_fma_f64 v[58:59], v[44:45], s[16:17], -v[58:59]
	v_fma_f64 v[64:65], v[46:47], s[16:17], -v[64:65]
	;; [unrolled: 1-line block ×4, first 2 shown]
	v_fma_f64 v[46:47], v[10:11], s[20:21], v[66:67]
	v_fma_f64 v[52:53], v[78:79], s[20:21], v[68:69]
	v_fma_f64 v[12:13], v[12:13], s[4:5], -v[68:69]
	v_fma_f64 v[56:57], v[78:79], s[22:23], -v[94:95]
	v_fma_f64 v[20:21], v[20:21], s[6:7], v[0:1]
	v_fma_f64 v[38:39], v[38:39], s[6:7], v[2:3]
	v_fma_f64 v[10:11], v[10:11], s[22:23], -v[70:71]
	v_fma_f64 v[54:55], v[80:81], s[4:5], -v[66:67]
	v_fma_f64 v[22:23], v[22:23], s[0:1], v[8:9]
	v_fma_f64 v[24:25], v[24:25], s[0:1], v[16:17]
	v_fma_f64 v[66:67], v[34:35], s[20:21], v[88:89]
	v_fma_f64 v[68:69], v[32:33], s[20:21], v[90:91]
	v_fma_f64 v[26:27], v[26:27], s[4:5], -v[88:89]
	v_fma_f64 v[30:31], v[30:31], s[6:7], v[4:5]
	v_fma_f64 v[36:37], v[36:37], s[6:7], v[6:7]
	v_fma_f64 v[34:35], v[34:35], s[22:23], -v[92:93]
	v_fma_f64 v[32:33], v[32:33], s[22:23], -v[96:97]
	v_fma_f64 v[8:9], v[82:83], s[12:13], -v[8:9]
	v_fma_f64 v[16:17], v[84:85], s[12:13], -v[16:17]
	v_fma_f64 v[48:49], v[82:83], s[16:17], -v[48:49]
	v_fma_f64 v[50:51], v[84:85], s[16:17], -v[50:51]
	v_fma_f64 v[28:29], v[28:29], s[4:5], -v[90:91]
	v_fma_f64 v[46:47], v[14:15], s[14:15], v[46:47]
	v_fma_f64 v[52:53], v[40:41], s[14:15], v[52:53]
	;; [unrolled: 1-line block ×4, first 2 shown]
	v_add_f64 v[56:57], v[60:61], v[20:21]
	v_add_f64 v[60:61], v[62:63], v[38:39]
	v_fma_f64 v[78:79], v[14:15], s[14:15], v[10:11]
	v_add_f64 v[42:43], v[42:43], v[20:21]
	v_add_f64 v[44:45], v[44:45], v[38:39]
	v_fma_f64 v[54:55], v[14:15], s[14:15], v[54:55]
	;; [unrolled: 3-line block ×3, first 2 shown]
	v_fma_f64 v[62:63], v[18:19], s[14:15], v[68:69]
	v_add_f64 v[82:83], v[22:23], v[30:31]
	v_add_f64 v[84:85], v[24:25], v[36:37]
	v_fma_f64 v[64:65], v[86:87], s[14:15], v[26:27]
	v_fma_f64 v[68:69], v[86:87], s[14:15], v[34:35]
	;; [unrolled: 1-line block ×3, first 2 shown]
	v_add_f64 v[86:87], v[8:9], v[30:31]
	v_add_f64 v[88:89], v[16:17], v[36:37]
	v_fma_f64 v[66:67], v[18:19], s[14:15], v[28:29]
	v_add_f64 v[48:49], v[48:49], v[30:31]
	v_add_f64 v[50:51], v[50:51], v[36:37]
	;; [unrolled: 1-line block ×3, first 2 shown]
	v_add_f64 v[10:11], v[60:61], -v[46:47]
	v_add_f64 v[28:29], v[56:57], -v[52:53]
	v_add_f64 v[12:13], v[40:41], v[42:43]
	v_add_f64 v[14:15], v[44:45], -v[78:79]
	v_add_f64 v[24:25], v[42:43], -v[40:41]
	;; [unrolled: 1-line block ×3, first 2 shown]
	v_add_f64 v[18:19], v[54:55], v[38:39]
	v_add_f64 v[20:21], v[70:71], v[20:21]
	v_add_f64 v[22:23], v[38:39], -v[54:55]
	v_add_f64 v[26:27], v[78:79], v[44:45]
	v_add_f64 v[30:31], v[46:47], v[60:61]
	;; [unrolled: 1-line block ×3, first 2 shown]
	v_add_f64 v[34:35], v[84:85], -v[58:59]
	v_add_f64 v[52:53], v[82:83], -v[62:63]
	v_add_f64 v[36:37], v[80:81], v[86:87]
	v_add_f64 v[38:39], v[88:89], -v[68:69]
	v_add_f64 v[54:55], v[58:59], v[84:85]
	;; [unrolled: 2-line block ×3, first 2 shown]
	v_add_f64 v[44:45], v[66:67], v[48:49]
	v_add_f64 v[46:47], v[50:51], -v[64:65]
	v_add_f64 v[48:49], v[86:87], -v[80:81]
	v_add_f64 v[50:51], v[68:69], v[88:89]
	ds_write_b128 v75, v[0:3]
	ds_write_b128 v75, v[4:7] offset:1360
	ds_write_b128 v75, v[8:11] offset:2720
	;; [unrolled: 1-line block ×13, first 2 shown]
	s_waitcnt lgkmcnt(0)
	s_barrier
	buffer_gl0_inv
	s_and_saveexec_b32 s0, vcc_lo
	s_cbranch_execz .LBB0_26
; %bb.25:
	v_mul_lo_u32 v2, s3, v76
	v_mul_lo_u32 v3, s2, v77
	v_mad_u64_u32 v[0:1], null, s2, v76, 0
	v_mov_b32_e32 v75, 0
	v_lshl_add_u32 v30, v74, 4, v174
	v_lshlrev_b64 v[12:13], 4, v[72:73]
	v_add_nc_u32_e32 v14, 0x55, v74
	v_add_nc_u32_e32 v16, 0xaa, v74
	v_mov_b32_e32 v15, v75
	v_add3_u32 v1, v1, v3, v2
	v_lshlrev_b64 v[18:19], 4, v[74:75]
	v_mov_b32_e32 v17, v75
	v_add_nc_u32_e32 v22, 0xff, v74
	v_mov_b32_e32 v23, v75
	v_lshlrev_b64 v[8:9], 4, v[0:1]
	ds_read_b128 v[0:3], v30
	ds_read_b128 v[4:7], v30 offset:1360
	v_lshlrev_b64 v[16:17], 4, v[16:17]
	v_add_nc_u32_e32 v28, 0x2a8, v74
	v_mov_b32_e32 v29, v75
	v_add_co_u32 v20, vcc_lo, s10, v8
	v_add_co_ci_u32_e32 v21, vcc_lo, s11, v9, vcc_lo
	ds_read_b128 v[8:11], v30 offset:2720
	v_add_co_u32 v31, vcc_lo, v20, v12
	v_add_co_ci_u32_e32 v32, vcc_lo, v21, v13, vcc_lo
	v_lshlrev_b64 v[12:13], 4, v[14:15]
	v_add_co_u32 v18, vcc_lo, v31, v18
	v_add_co_ci_u32_e32 v19, vcc_lo, v32, v19, vcc_lo
	v_add_co_u32 v20, vcc_lo, v31, v12
	v_add_co_ci_u32_e32 v21, vcc_lo, v32, v13, vcc_lo
	ds_read_b128 v[12:15], v30 offset:4080
	s_waitcnt lgkmcnt(3)
	global_store_dwordx4 v[18:19], v[0:3], off
	s_waitcnt lgkmcnt(2)
	global_store_dwordx4 v[20:21], v[4:7], off
	v_lshlrev_b64 v[0:1], 4, v[22:23]
	v_add_co_u32 v2, vcc_lo, v31, v16
	v_add_co_ci_u32_e32 v3, vcc_lo, v32, v17, vcc_lo
	v_add_nc_u32_e32 v4, 0x154, v74
	v_add_co_u32 v0, vcc_lo, v31, v0
	v_add_co_ci_u32_e32 v1, vcc_lo, v32, v1, vcc_lo
	v_mov_b32_e32 v5, v75
	s_waitcnt lgkmcnt(1)
	global_store_dwordx4 v[2:3], v[8:11], off
	v_add_nc_u32_e32 v8, 0x1a9, v74
	v_mov_b32_e32 v9, v75
	v_add_nc_u32_e32 v16, 0x1fe, v74
	v_mov_b32_e32 v17, v75
	s_waitcnt lgkmcnt(0)
	global_store_dwordx4 v[0:1], v[12:15], off
	v_lshlrev_b64 v[12:13], 4, v[4:5]
	ds_read_b128 v[0:3], v30 offset:5440
	ds_read_b128 v[4:7], v30 offset:6800
	v_lshlrev_b64 v[14:15], 4, v[8:9]
	ds_read_b128 v[8:11], v30 offset:8160
	v_add_co_u32 v20, vcc_lo, v31, v12
	v_add_co_ci_u32_e32 v21, vcc_lo, v32, v13, vcc_lo
	v_lshlrev_b64 v[12:13], 4, v[16:17]
	v_add_nc_u32_e32 v16, 0x253, v74
	v_add_co_u32 v22, vcc_lo, v31, v14
	v_add_co_ci_u32_e32 v23, vcc_lo, v32, v15, vcc_lo
	v_lshlrev_b64 v[26:27], 4, v[16:17]
	ds_read_b128 v[16:19], v30 offset:10880
	v_add_co_u32 v24, vcc_lo, v31, v12
	v_add_co_ci_u32_e32 v25, vcc_lo, v32, v13, vcc_lo
	ds_read_b128 v[12:15], v30 offset:9520
	s_waitcnt lgkmcnt(4)
	global_store_dwordx4 v[20:21], v[0:3], off
	s_waitcnt lgkmcnt(3)
	global_store_dwordx4 v[22:23], v[4:7], off
	s_waitcnt lgkmcnt(2)
	global_store_dwordx4 v[24:25], v[8:11], off
	v_lshlrev_b64 v[0:1], 4, v[28:29]
	v_add_co_u32 v2, vcc_lo, v31, v26
	v_add_co_ci_u32_e32 v3, vcc_lo, v32, v27, vcc_lo
	v_add_nc_u32_e32 v4, 0x2fd, v74
	v_mov_b32_e32 v5, v75
	v_add_co_u32 v6, vcc_lo, v31, v0
	v_add_co_ci_u32_e32 v7, vcc_lo, v32, v1, vcc_lo
	v_add_nc_u32_e32 v8, 0x352, v74
	v_mov_b32_e32 v9, v75
	v_lshlrev_b64 v[4:5], 4, v[4:5]
	s_waitcnt lgkmcnt(1)
	global_store_dwordx4 v[6:7], v[16:19], off
	v_add_nc_u32_e32 v24, 0x3fc, v74
	v_mov_b32_e32 v25, v75
	v_lshlrev_b64 v[6:7], 4, v[8:9]
	s_waitcnt lgkmcnt(0)
	global_store_dwordx4 v[2:3], v[12:15], off
	v_add_co_u32 v20, vcc_lo, v31, v4
	v_add_nc_u32_e32 v12, 0x3a7, v74
	v_mov_b32_e32 v13, v75
	v_add_co_ci_u32_e32 v21, vcc_lo, v32, v5, vcc_lo
	v_add_co_u32 v22, vcc_lo, v31, v6
	ds_read_b128 v[0:3], v30 offset:12240
	v_add_co_ci_u32_e32 v23, vcc_lo, v32, v7, vcc_lo
	ds_read_b128 v[4:7], v30 offset:13600
	ds_read_b128 v[8:11], v30 offset:14960
	v_lshlrev_b64 v[26:27], 4, v[12:13]
	ds_read_b128 v[12:15], v30 offset:16320
	ds_read_b128 v[16:19], v30 offset:17680
	v_add_nc_u32_e32 v74, 0x451, v74
	v_lshlrev_b64 v[24:25], 4, v[24:25]
	v_add_co_u32 v26, vcc_lo, v31, v26
	v_lshlrev_b64 v[28:29], 4, v[74:75]
	v_add_co_ci_u32_e32 v27, vcc_lo, v32, v27, vcc_lo
	v_add_co_u32 v24, vcc_lo, v31, v24
	v_add_co_ci_u32_e32 v25, vcc_lo, v32, v25, vcc_lo
	v_add_co_u32 v28, vcc_lo, v31, v28
	v_add_co_ci_u32_e32 v29, vcc_lo, v32, v29, vcc_lo
	s_waitcnt lgkmcnt(4)
	global_store_dwordx4 v[20:21], v[0:3], off
	s_waitcnt lgkmcnt(3)
	global_store_dwordx4 v[22:23], v[4:7], off
	;; [unrolled: 2-line block ×5, first 2 shown]
.LBB0_26:
	s_endpgm
	.section	.rodata,"a",@progbits
	.p2align	6, 0x0
	.amdhsa_kernel fft_rtc_back_len1190_factors_17_2_5_7_wgs_255_tpt_85_halfLds_dp_op_CI_CI_unitstride_sbrr_C2R_dirReg
		.amdhsa_group_segment_fixed_size 0
		.amdhsa_private_segment_fixed_size 0
		.amdhsa_kernarg_size 104
		.amdhsa_user_sgpr_count 6
		.amdhsa_user_sgpr_private_segment_buffer 1
		.amdhsa_user_sgpr_dispatch_ptr 0
		.amdhsa_user_sgpr_queue_ptr 0
		.amdhsa_user_sgpr_kernarg_segment_ptr 1
		.amdhsa_user_sgpr_dispatch_id 0
		.amdhsa_user_sgpr_flat_scratch_init 0
		.amdhsa_user_sgpr_private_segment_size 0
		.amdhsa_wavefront_size32 1
		.amdhsa_uses_dynamic_stack 0
		.amdhsa_system_sgpr_private_segment_wavefront_offset 0
		.amdhsa_system_sgpr_workgroup_id_x 1
		.amdhsa_system_sgpr_workgroup_id_y 0
		.amdhsa_system_sgpr_workgroup_id_z 0
		.amdhsa_system_sgpr_workgroup_info 0
		.amdhsa_system_vgpr_workitem_id 0
		.amdhsa_next_free_vgpr 207
		.amdhsa_next_free_sgpr 54
		.amdhsa_reserve_vcc 1
		.amdhsa_reserve_flat_scratch 0
		.amdhsa_float_round_mode_32 0
		.amdhsa_float_round_mode_16_64 0
		.amdhsa_float_denorm_mode_32 3
		.amdhsa_float_denorm_mode_16_64 3
		.amdhsa_dx10_clamp 1
		.amdhsa_ieee_mode 1
		.amdhsa_fp16_overflow 0
		.amdhsa_workgroup_processor_mode 1
		.amdhsa_memory_ordered 1
		.amdhsa_forward_progress 0
		.amdhsa_shared_vgpr_count 0
		.amdhsa_exception_fp_ieee_invalid_op 0
		.amdhsa_exception_fp_denorm_src 0
		.amdhsa_exception_fp_ieee_div_zero 0
		.amdhsa_exception_fp_ieee_overflow 0
		.amdhsa_exception_fp_ieee_underflow 0
		.amdhsa_exception_fp_ieee_inexact 0
		.amdhsa_exception_int_div_zero 0
	.end_amdhsa_kernel
	.text
.Lfunc_end0:
	.size	fft_rtc_back_len1190_factors_17_2_5_7_wgs_255_tpt_85_halfLds_dp_op_CI_CI_unitstride_sbrr_C2R_dirReg, .Lfunc_end0-fft_rtc_back_len1190_factors_17_2_5_7_wgs_255_tpt_85_halfLds_dp_op_CI_CI_unitstride_sbrr_C2R_dirReg
                                        ; -- End function
	.section	.AMDGPU.csdata,"",@progbits
; Kernel info:
; codeLenInByte = 16584
; NumSgprs: 56
; NumVgprs: 207
; ScratchSize: 0
; MemoryBound: 0
; FloatMode: 240
; IeeeMode: 1
; LDSByteSize: 0 bytes/workgroup (compile time only)
; SGPRBlocks: 6
; VGPRBlocks: 25
; NumSGPRsForWavesPerEU: 56
; NumVGPRsForWavesPerEU: 207
; Occupancy: 4
; WaveLimiterHint : 1
; COMPUTE_PGM_RSRC2:SCRATCH_EN: 0
; COMPUTE_PGM_RSRC2:USER_SGPR: 6
; COMPUTE_PGM_RSRC2:TRAP_HANDLER: 0
; COMPUTE_PGM_RSRC2:TGID_X_EN: 1
; COMPUTE_PGM_RSRC2:TGID_Y_EN: 0
; COMPUTE_PGM_RSRC2:TGID_Z_EN: 0
; COMPUTE_PGM_RSRC2:TIDIG_COMP_CNT: 0
	.text
	.p2alignl 6, 3214868480
	.fill 48, 4, 3214868480
	.type	__hip_cuid_12bea9b6ac2b8597,@object ; @__hip_cuid_12bea9b6ac2b8597
	.section	.bss,"aw",@nobits
	.globl	__hip_cuid_12bea9b6ac2b8597
__hip_cuid_12bea9b6ac2b8597:
	.byte	0                               ; 0x0
	.size	__hip_cuid_12bea9b6ac2b8597, 1

	.ident	"AMD clang version 19.0.0git (https://github.com/RadeonOpenCompute/llvm-project roc-6.4.0 25133 c7fe45cf4b819c5991fe208aaa96edf142730f1d)"
	.section	".note.GNU-stack","",@progbits
	.addrsig
	.addrsig_sym __hip_cuid_12bea9b6ac2b8597
	.amdgpu_metadata
---
amdhsa.kernels:
  - .args:
      - .actual_access:  read_only
        .address_space:  global
        .offset:         0
        .size:           8
        .value_kind:     global_buffer
      - .offset:         8
        .size:           8
        .value_kind:     by_value
      - .actual_access:  read_only
        .address_space:  global
        .offset:         16
        .size:           8
        .value_kind:     global_buffer
      - .actual_access:  read_only
        .address_space:  global
        .offset:         24
        .size:           8
        .value_kind:     global_buffer
      - .actual_access:  read_only
        .address_space:  global
        .offset:         32
        .size:           8
        .value_kind:     global_buffer
      - .offset:         40
        .size:           8
        .value_kind:     by_value
      - .actual_access:  read_only
        .address_space:  global
        .offset:         48
        .size:           8
        .value_kind:     global_buffer
      - .actual_access:  read_only
        .address_space:  global
        .offset:         56
        .size:           8
        .value_kind:     global_buffer
      - .offset:         64
        .size:           4
        .value_kind:     by_value
      - .actual_access:  read_only
        .address_space:  global
        .offset:         72
        .size:           8
        .value_kind:     global_buffer
      - .actual_access:  read_only
        .address_space:  global
        .offset:         80
        .size:           8
        .value_kind:     global_buffer
      - .actual_access:  read_only
        .address_space:  global
        .offset:         88
        .size:           8
        .value_kind:     global_buffer
      - .actual_access:  write_only
        .address_space:  global
        .offset:         96
        .size:           8
        .value_kind:     global_buffer
    .group_segment_fixed_size: 0
    .kernarg_segment_align: 8
    .kernarg_segment_size: 104
    .language:       OpenCL C
    .language_version:
      - 2
      - 0
    .max_flat_workgroup_size: 255
    .name:           fft_rtc_back_len1190_factors_17_2_5_7_wgs_255_tpt_85_halfLds_dp_op_CI_CI_unitstride_sbrr_C2R_dirReg
    .private_segment_fixed_size: 0
    .sgpr_count:     56
    .sgpr_spill_count: 0
    .symbol:         fft_rtc_back_len1190_factors_17_2_5_7_wgs_255_tpt_85_halfLds_dp_op_CI_CI_unitstride_sbrr_C2R_dirReg.kd
    .uniform_work_group_size: 1
    .uses_dynamic_stack: false
    .vgpr_count:     207
    .vgpr_spill_count: 0
    .wavefront_size: 32
    .workgroup_processor_mode: 1
amdhsa.target:   amdgcn-amd-amdhsa--gfx1030
amdhsa.version:
  - 1
  - 2
...

	.end_amdgpu_metadata
